;; amdgpu-corpus repo=LLNL/RAJAPerf kind=compiled arch=gfx1250 opt=O3
	.amdgcn_target "amdgcn-amd-amdhsa--gfx1250"
	.amdhsa_code_object_version 6
	.section	.text._ZN8rajaperf4comm23halo_packing_fused_packILm1024EEEvPPdPPiS3_Pl,"axG",@progbits,_ZN8rajaperf4comm23halo_packing_fused_packILm1024EEEvPPdPPiS3_Pl,comdat
	.protected	_ZN8rajaperf4comm23halo_packing_fused_packILm1024EEEvPPdPPiS3_Pl ; -- Begin function _ZN8rajaperf4comm23halo_packing_fused_packILm1024EEEvPPdPPiS3_Pl
	.globl	_ZN8rajaperf4comm23halo_packing_fused_packILm1024EEEvPPdPPiS3_Pl
	.p2align	8
	.type	_ZN8rajaperf4comm23halo_packing_fused_packILm1024EEEvPPdPPiS3_Pl,@function
_ZN8rajaperf4comm23halo_packing_fused_packILm1024EEEvPPdPPiS3_Pl: ; @_ZN8rajaperf4comm23halo_packing_fused_packILm1024EEEvPPdPPiS3_Pl
; %bb.0:
	s_load_b256 s[4:11], s[0:1], 0x0
	s_bfe_u32 s2, ttmp6, 0x4000c
	s_bfe_u32 s12, ttmp6, 0x40010
	s_add_co_i32 s2, s2, 1
	s_and_b32 s3, ttmp6, 15
	s_mul_i32 s2, ttmp9, s2
	s_add_co_i32 s12, s12, 1
	s_add_co_i32 s13, s3, s2
	s_mul_i32 s2, ttmp7, s12
	s_bfe_u32 s3, ttmp6, 0x40004
	s_getreg_b32 s12, hwreg(HW_REG_IB_STS2, 6, 4)
	s_add_co_i32 s3, s3, s2
	s_cmp_eq_u32 s12, 0
	s_cselect_b32 s12, ttmp7, s3
	s_wait_kmcnt 0x0
	s_load_b64 s[2:3], s[10:11], s12 offset:0x0 scale_offset
	s_wait_xcnt 0x0
	s_mov_b32 s11, 0
	s_cselect_b32 s10, ttmp9, s13
	s_mov_b32 s13, exec_lo
	s_lshl_b64 s[14:15], s[10:11], 10
	s_delay_alu instid0(SALU_CYCLE_1) | instskip(SKIP_1) | instid1(VALU_DEP_1)
	v_dual_mov_b32 v3, s15 :: v_dual_bitop2_b32 v2, s14, v0 bitop3:0x54
	s_wait_kmcnt 0x0
	v_cmpx_gt_i64_e64 s[2:3], v[2:3]
	s_cbranch_execz .LBB0_3
; %bb.1:
	s_mov_b32 s13, s11
	v_dual_mov_b32 v7, 0 :: v_dual_lshlrev_b32 v6, 3, v0
	s_lshl_b64 s[12:13], s[12:13], 3
	s_mov_b32 s17, s11
	s_add_nc_u64 s[4:5], s[4:5], s[12:13]
	s_add_nc_u64 s[6:7], s[6:7], s[12:13]
	s_load_b64 s[4:5], s[4:5], 0x0
	s_nop 0
	s_load_b64 s[14:15], s[6:7], 0x0
	s_load_b32 s16, s[0:1], 0x20
	s_wait_xcnt 0x0
	s_add_nc_u64 s[0:1], s[8:9], s[12:13]
	s_lshl_b64 s[6:7], s[10:11], 13
	s_load_b64 s[0:1], s[0:1], 0x0
	s_wait_kmcnt 0x0
	s_add_nc_u64 s[4:5], s[4:5], s[6:7]
	s_lshl_b64 s[6:7], s[16:17], 13
	v_add_nc_u64_e32 v[4:5], s[4:5], v[6:7]
	v_lshlrev_b32_e32 v6, 2, v0
	s_lshl_b64 s[4:5], s[10:11], 12
	s_lshl_b64 s[8:9], s[16:17], 12
	s_add_nc_u64 s[4:5], s[14:15], s[4:5]
	s_delay_alu instid0(VALU_DEP_1) | instid1(SALU_CYCLE_1)
	v_add_nc_u64_e32 v[0:1], s[4:5], v[6:7]
	s_lshl_b64 s[4:5], s[16:17], 10
.LBB0_2:                                ; =>This Inner Loop Header: Depth=1
	flat_load_b32 v6, v[0:1]
	v_add_nc_u64_e32 v[2:3], s[4:5], v[2:3]
	s_wait_xcnt 0x0
	v_add_nc_u64_e32 v[0:1], s[8:9], v[0:1]
	s_delay_alu instid0(VALU_DEP_2)
	v_cmp_le_i64_e32 vcc_lo, s[2:3], v[2:3]
	s_or_b32 s11, vcc_lo, s11
	s_wait_loadcnt_dscnt 0x0
	flat_load_b64 v[6:7], v6, s[0:1] scale_offset
	s_wait_loadcnt_dscnt 0x0
	flat_store_b64 v[4:5], v[6:7]
	s_wait_xcnt 0x0
	v_add_nc_u64_e32 v[4:5], s[6:7], v[4:5]
	s_and_not1_b32 exec_lo, exec_lo, s11
	s_cbranch_execnz .LBB0_2
.LBB0_3:
	s_endpgm
	.section	.rodata,"a",@progbits
	.p2align	6, 0x0
	.amdhsa_kernel _ZN8rajaperf4comm23halo_packing_fused_packILm1024EEEvPPdPPiS3_Pl
		.amdhsa_group_segment_fixed_size 0
		.amdhsa_private_segment_fixed_size 0
		.amdhsa_kernarg_size 288
		.amdhsa_user_sgpr_count 2
		.amdhsa_user_sgpr_dispatch_ptr 0
		.amdhsa_user_sgpr_queue_ptr 0
		.amdhsa_user_sgpr_kernarg_segment_ptr 1
		.amdhsa_user_sgpr_dispatch_id 0
		.amdhsa_user_sgpr_kernarg_preload_length 0
		.amdhsa_user_sgpr_kernarg_preload_offset 0
		.amdhsa_user_sgpr_private_segment_size 0
		.amdhsa_wavefront_size32 1
		.amdhsa_uses_dynamic_stack 0
		.amdhsa_enable_private_segment 0
		.amdhsa_system_sgpr_workgroup_id_x 1
		.amdhsa_system_sgpr_workgroup_id_y 1
		.amdhsa_system_sgpr_workgroup_id_z 0
		.amdhsa_system_sgpr_workgroup_info 0
		.amdhsa_system_vgpr_workitem_id 0
		.amdhsa_next_free_vgpr 8
		.amdhsa_next_free_sgpr 18
		.amdhsa_named_barrier_count 0
		.amdhsa_reserve_vcc 1
		.amdhsa_float_round_mode_32 0
		.amdhsa_float_round_mode_16_64 0
		.amdhsa_float_denorm_mode_32 3
		.amdhsa_float_denorm_mode_16_64 3
		.amdhsa_fp16_overflow 0
		.amdhsa_memory_ordered 1
		.amdhsa_forward_progress 1
		.amdhsa_inst_pref_size 3
		.amdhsa_round_robin_scheduling 0
		.amdhsa_exception_fp_ieee_invalid_op 0
		.amdhsa_exception_fp_denorm_src 0
		.amdhsa_exception_fp_ieee_div_zero 0
		.amdhsa_exception_fp_ieee_overflow 0
		.amdhsa_exception_fp_ieee_underflow 0
		.amdhsa_exception_fp_ieee_inexact 0
		.amdhsa_exception_int_div_zero 0
	.end_amdhsa_kernel
	.section	.text._ZN8rajaperf4comm23halo_packing_fused_packILm1024EEEvPPdPPiS3_Pl,"axG",@progbits,_ZN8rajaperf4comm23halo_packing_fused_packILm1024EEEvPPdPPiS3_Pl,comdat
.Lfunc_end0:
	.size	_ZN8rajaperf4comm23halo_packing_fused_packILm1024EEEvPPdPPiS3_Pl, .Lfunc_end0-_ZN8rajaperf4comm23halo_packing_fused_packILm1024EEEvPPdPPiS3_Pl
                                        ; -- End function
	.set _ZN8rajaperf4comm23halo_packing_fused_packILm1024EEEvPPdPPiS3_Pl.num_vgpr, 8
	.set _ZN8rajaperf4comm23halo_packing_fused_packILm1024EEEvPPdPPiS3_Pl.num_agpr, 0
	.set _ZN8rajaperf4comm23halo_packing_fused_packILm1024EEEvPPdPPiS3_Pl.numbered_sgpr, 18
	.set _ZN8rajaperf4comm23halo_packing_fused_packILm1024EEEvPPdPPiS3_Pl.num_named_barrier, 0
	.set _ZN8rajaperf4comm23halo_packing_fused_packILm1024EEEvPPdPPiS3_Pl.private_seg_size, 0
	.set _ZN8rajaperf4comm23halo_packing_fused_packILm1024EEEvPPdPPiS3_Pl.uses_vcc, 1
	.set _ZN8rajaperf4comm23halo_packing_fused_packILm1024EEEvPPdPPiS3_Pl.uses_flat_scratch, 0
	.set _ZN8rajaperf4comm23halo_packing_fused_packILm1024EEEvPPdPPiS3_Pl.has_dyn_sized_stack, 0
	.set _ZN8rajaperf4comm23halo_packing_fused_packILm1024EEEvPPdPPiS3_Pl.has_recursion, 0
	.set _ZN8rajaperf4comm23halo_packing_fused_packILm1024EEEvPPdPPiS3_Pl.has_indirect_call, 0
	.section	.AMDGPU.csdata,"",@progbits
; Kernel info:
; codeLenInByte = 344
; TotalNumSgprs: 20
; NumVgprs: 8
; ScratchSize: 0
; MemoryBound: 0
; FloatMode: 240
; IeeeMode: 1
; LDSByteSize: 0 bytes/workgroup (compile time only)
; SGPRBlocks: 0
; VGPRBlocks: 0
; NumSGPRsForWavesPerEU: 20
; NumVGPRsForWavesPerEU: 8
; NamedBarCnt: 0
; Occupancy: 16
; WaveLimiterHint : 1
; COMPUTE_PGM_RSRC2:SCRATCH_EN: 0
; COMPUTE_PGM_RSRC2:USER_SGPR: 2
; COMPUTE_PGM_RSRC2:TRAP_HANDLER: 0
; COMPUTE_PGM_RSRC2:TGID_X_EN: 1
; COMPUTE_PGM_RSRC2:TGID_Y_EN: 1
; COMPUTE_PGM_RSRC2:TGID_Z_EN: 0
; COMPUTE_PGM_RSRC2:TIDIG_COMP_CNT: 0
	.section	.text._ZN8rajaperf4comm25halo_packing_fused_unpackILm1024EEEvPPdPPiS3_Pl,"axG",@progbits,_ZN8rajaperf4comm25halo_packing_fused_unpackILm1024EEEvPPdPPiS3_Pl,comdat
	.protected	_ZN8rajaperf4comm25halo_packing_fused_unpackILm1024EEEvPPdPPiS3_Pl ; -- Begin function _ZN8rajaperf4comm25halo_packing_fused_unpackILm1024EEEvPPdPPiS3_Pl
	.globl	_ZN8rajaperf4comm25halo_packing_fused_unpackILm1024EEEvPPdPPiS3_Pl
	.p2align	8
	.type	_ZN8rajaperf4comm25halo_packing_fused_unpackILm1024EEEvPPdPPiS3_Pl,@function
_ZN8rajaperf4comm25halo_packing_fused_unpackILm1024EEEvPPdPPiS3_Pl: ; @_ZN8rajaperf4comm25halo_packing_fused_unpackILm1024EEEvPPdPPiS3_Pl
; %bb.0:
	s_load_b256 s[4:11], s[0:1], 0x0
	s_bfe_u32 s2, ttmp6, 0x4000c
	s_bfe_u32 s12, ttmp6, 0x40010
	s_add_co_i32 s2, s2, 1
	s_and_b32 s3, ttmp6, 15
	s_mul_i32 s2, ttmp9, s2
	s_add_co_i32 s12, s12, 1
	s_add_co_i32 s13, s3, s2
	s_mul_i32 s2, ttmp7, s12
	s_bfe_u32 s3, ttmp6, 0x40004
	s_getreg_b32 s12, hwreg(HW_REG_IB_STS2, 6, 4)
	s_add_co_i32 s3, s3, s2
	s_cmp_eq_u32 s12, 0
	s_cselect_b32 s12, ttmp7, s3
	s_wait_kmcnt 0x0
	s_load_b64 s[2:3], s[10:11], s12 offset:0x0 scale_offset
	s_wait_xcnt 0x0
	s_mov_b32 s11, 0
	s_cselect_b32 s10, ttmp9, s13
	s_mov_b32 s13, exec_lo
	s_lshl_b64 s[14:15], s[10:11], 10
	s_delay_alu instid0(SALU_CYCLE_1) | instskip(SKIP_1) | instid1(VALU_DEP_1)
	v_dual_mov_b32 v3, s15 :: v_dual_bitop2_b32 v2, s14, v0 bitop3:0x54
	s_wait_kmcnt 0x0
	v_cmpx_gt_i64_e64 s[2:3], v[2:3]
	s_cbranch_execz .LBB1_3
; %bb.1:
	s_mov_b32 s13, s11
	v_dual_mov_b32 v7, 0 :: v_dual_lshlrev_b32 v6, 2, v0
	s_lshl_b64 s[12:13], s[12:13], 3
	s_mov_b32 s17, s11
	s_add_nc_u64 s[6:7], s[6:7], s[12:13]
	s_add_nc_u64 s[4:5], s[4:5], s[12:13]
	s_load_b64 s[6:7], s[6:7], 0x0
	s_nop 0
	s_load_b64 s[14:15], s[4:5], 0x0
	s_load_b32 s16, s[0:1], 0x20
	s_wait_xcnt 0x0
	s_add_nc_u64 s[0:1], s[8:9], s[12:13]
	s_lshl_b64 s[4:5], s[10:11], 12
	s_load_b64 s[0:1], s[0:1], 0x0
	s_wait_kmcnt 0x0
	s_add_nc_u64 s[4:5], s[6:7], s[4:5]
	s_lshl_b64 s[6:7], s[16:17], 12
	v_add_nc_u64_e32 v[4:5], s[4:5], v[6:7]
	v_lshlrev_b32_e32 v6, 3, v0
	s_lshl_b64 s[4:5], s[10:11], 13
	s_lshl_b64 s[8:9], s[16:17], 13
	s_add_nc_u64 s[4:5], s[14:15], s[4:5]
	s_delay_alu instid0(VALU_DEP_1) | instid1(SALU_CYCLE_1)
	v_add_nc_u64_e32 v[0:1], s[4:5], v[6:7]
	s_lshl_b64 s[4:5], s[16:17], 10
.LBB1_2:                                ; =>This Inner Loop Header: Depth=1
	flat_load_b64 v[6:7], v[0:1]
	flat_load_b32 v8, v[4:5]
	v_add_nc_u64_e32 v[2:3], s[4:5], v[2:3]
	s_wait_xcnt 0x0
	v_add_nc_u64_e32 v[4:5], s[6:7], v[4:5]
	v_add_nc_u64_e32 v[0:1], s[8:9], v[0:1]
	s_delay_alu instid0(VALU_DEP_3)
	v_cmp_le_i64_e32 vcc_lo, s[2:3], v[2:3]
	s_or_b32 s11, vcc_lo, s11
	s_wait_loadcnt_dscnt 0x0
	flat_store_b64 v8, v[6:7], s[0:1] scale_offset
	s_wait_xcnt 0x0
	s_and_not1_b32 exec_lo, exec_lo, s11
	s_cbranch_execnz .LBB1_2
.LBB1_3:
	s_endpgm
	.section	.rodata,"a",@progbits
	.p2align	6, 0x0
	.amdhsa_kernel _ZN8rajaperf4comm25halo_packing_fused_unpackILm1024EEEvPPdPPiS3_Pl
		.amdhsa_group_segment_fixed_size 0
		.amdhsa_private_segment_fixed_size 0
		.amdhsa_kernarg_size 288
		.amdhsa_user_sgpr_count 2
		.amdhsa_user_sgpr_dispatch_ptr 0
		.amdhsa_user_sgpr_queue_ptr 0
		.amdhsa_user_sgpr_kernarg_segment_ptr 1
		.amdhsa_user_sgpr_dispatch_id 0
		.amdhsa_user_sgpr_kernarg_preload_length 0
		.amdhsa_user_sgpr_kernarg_preload_offset 0
		.amdhsa_user_sgpr_private_segment_size 0
		.amdhsa_wavefront_size32 1
		.amdhsa_uses_dynamic_stack 0
		.amdhsa_enable_private_segment 0
		.amdhsa_system_sgpr_workgroup_id_x 1
		.amdhsa_system_sgpr_workgroup_id_y 1
		.amdhsa_system_sgpr_workgroup_id_z 0
		.amdhsa_system_sgpr_workgroup_info 0
		.amdhsa_system_vgpr_workitem_id 0
		.amdhsa_next_free_vgpr 9
		.amdhsa_next_free_sgpr 18
		.amdhsa_named_barrier_count 0
		.amdhsa_reserve_vcc 1
		.amdhsa_float_round_mode_32 0
		.amdhsa_float_round_mode_16_64 0
		.amdhsa_float_denorm_mode_32 3
		.amdhsa_float_denorm_mode_16_64 3
		.amdhsa_fp16_overflow 0
		.amdhsa_memory_ordered 1
		.amdhsa_forward_progress 1
		.amdhsa_inst_pref_size 3
		.amdhsa_round_robin_scheduling 0
		.amdhsa_exception_fp_ieee_invalid_op 0
		.amdhsa_exception_fp_denorm_src 0
		.amdhsa_exception_fp_ieee_div_zero 0
		.amdhsa_exception_fp_ieee_overflow 0
		.amdhsa_exception_fp_ieee_underflow 0
		.amdhsa_exception_fp_ieee_inexact 0
		.amdhsa_exception_int_div_zero 0
	.end_amdhsa_kernel
	.section	.text._ZN8rajaperf4comm25halo_packing_fused_unpackILm1024EEEvPPdPPiS3_Pl,"axG",@progbits,_ZN8rajaperf4comm25halo_packing_fused_unpackILm1024EEEvPPdPPiS3_Pl,comdat
.Lfunc_end1:
	.size	_ZN8rajaperf4comm25halo_packing_fused_unpackILm1024EEEvPPdPPiS3_Pl, .Lfunc_end1-_ZN8rajaperf4comm25halo_packing_fused_unpackILm1024EEEvPPdPPiS3_Pl
                                        ; -- End function
	.set _ZN8rajaperf4comm25halo_packing_fused_unpackILm1024EEEvPPdPPiS3_Pl.num_vgpr, 9
	.set _ZN8rajaperf4comm25halo_packing_fused_unpackILm1024EEEvPPdPPiS3_Pl.num_agpr, 0
	.set _ZN8rajaperf4comm25halo_packing_fused_unpackILm1024EEEvPPdPPiS3_Pl.numbered_sgpr, 18
	.set _ZN8rajaperf4comm25halo_packing_fused_unpackILm1024EEEvPPdPPiS3_Pl.num_named_barrier, 0
	.set _ZN8rajaperf4comm25halo_packing_fused_unpackILm1024EEEvPPdPPiS3_Pl.private_seg_size, 0
	.set _ZN8rajaperf4comm25halo_packing_fused_unpackILm1024EEEvPPdPPiS3_Pl.uses_vcc, 1
	.set _ZN8rajaperf4comm25halo_packing_fused_unpackILm1024EEEvPPdPPiS3_Pl.uses_flat_scratch, 0
	.set _ZN8rajaperf4comm25halo_packing_fused_unpackILm1024EEEvPPdPPiS3_Pl.has_dyn_sized_stack, 0
	.set _ZN8rajaperf4comm25halo_packing_fused_unpackILm1024EEEvPPdPPiS3_Pl.has_recursion, 0
	.set _ZN8rajaperf4comm25halo_packing_fused_unpackILm1024EEEvPPdPPiS3_Pl.has_indirect_call, 0
	.section	.AMDGPU.csdata,"",@progbits
; Kernel info:
; codeLenInByte = 340
; TotalNumSgprs: 20
; NumVgprs: 9
; ScratchSize: 0
; MemoryBound: 0
; FloatMode: 240
; IeeeMode: 1
; LDSByteSize: 0 bytes/workgroup (compile time only)
; SGPRBlocks: 0
; VGPRBlocks: 0
; NumSGPRsForWavesPerEU: 20
; NumVGPRsForWavesPerEU: 9
; NamedBarCnt: 0
; Occupancy: 16
; WaveLimiterHint : 1
; COMPUTE_PGM_RSRC2:SCRATCH_EN: 0
; COMPUTE_PGM_RSRC2:USER_SGPR: 2
; COMPUTE_PGM_RSRC2:TRAP_HANDLER: 0
; COMPUTE_PGM_RSRC2:TGID_X_EN: 1
; COMPUTE_PGM_RSRC2:TGID_Y_EN: 1
; COMPUTE_PGM_RSRC2:TGID_Z_EN: 0
; COMPUTE_PGM_RSRC2:TIDIG_COMP_CNT: 0
	.section	.text._ZN4RAJA6detail28hip_unordered_y_block_globalILm1024ENS0_22random_access_iteratorINS0_11WorkStorageINS_6policy9workgroup32constant_stride_array_of_objectsEN8rajaperf23RAJAPoolAllocatorHolderINS_13basic_mempool7MemPoolINS_3hip15PinnedAllocatorEEEE9AllocatorIcEENS0_10DispatcherILN4camp9resources2v18PlatformE8ENS5_15direct_dispatchIJNS0_29HoldHipDeviceXThreadblockLoopINS_17TypedRangeSegmentIllEENS7_4comm9HALO_base6PackerElJEEENSN_ISP_NSR_8UnPackerElJEEEEEENS4_3hip8hip_workILm1024ELb1EEEJEEEE19const_iterator_baseEEENS0_10WorkStructILm16ES10_EElJEEEvT0_DpT3_,"axG",@progbits,_ZN4RAJA6detail28hip_unordered_y_block_globalILm1024ENS0_22random_access_iteratorINS0_11WorkStorageINS_6policy9workgroup32constant_stride_array_of_objectsEN8rajaperf23RAJAPoolAllocatorHolderINS_13basic_mempool7MemPoolINS_3hip15PinnedAllocatorEEEE9AllocatorIcEENS0_10DispatcherILN4camp9resources2v18PlatformE8ENS5_15direct_dispatchIJNS0_29HoldHipDeviceXThreadblockLoopINS_17TypedRangeSegmentIllEENS7_4comm9HALO_base6PackerElJEEENSN_ISP_NSR_8UnPackerElJEEEEEENS4_3hip8hip_workILm1024ELb1EEEJEEEE19const_iterator_baseEEENS0_10WorkStructILm16ES10_EElJEEEvT0_DpT3_,comdat
	.protected	_ZN4RAJA6detail28hip_unordered_y_block_globalILm1024ENS0_22random_access_iteratorINS0_11WorkStorageINS_6policy9workgroup32constant_stride_array_of_objectsEN8rajaperf23RAJAPoolAllocatorHolderINS_13basic_mempool7MemPoolINS_3hip15PinnedAllocatorEEEE9AllocatorIcEENS0_10DispatcherILN4camp9resources2v18PlatformE8ENS5_15direct_dispatchIJNS0_29HoldHipDeviceXThreadblockLoopINS_17TypedRangeSegmentIllEENS7_4comm9HALO_base6PackerElJEEENSN_ISP_NSR_8UnPackerElJEEEEEENS4_3hip8hip_workILm1024ELb1EEEJEEEE19const_iterator_baseEEENS0_10WorkStructILm16ES10_EElJEEEvT0_DpT3_ ; -- Begin function _ZN4RAJA6detail28hip_unordered_y_block_globalILm1024ENS0_22random_access_iteratorINS0_11WorkStorageINS_6policy9workgroup32constant_stride_array_of_objectsEN8rajaperf23RAJAPoolAllocatorHolderINS_13basic_mempool7MemPoolINS_3hip15PinnedAllocatorEEEE9AllocatorIcEENS0_10DispatcherILN4camp9resources2v18PlatformE8ENS5_15direct_dispatchIJNS0_29HoldHipDeviceXThreadblockLoopINS_17TypedRangeSegmentIllEENS7_4comm9HALO_base6PackerElJEEENSN_ISP_NSR_8UnPackerElJEEEEEENS4_3hip8hip_workILm1024ELb1EEEJEEEE19const_iterator_baseEEENS0_10WorkStructILm16ES10_EElJEEEvT0_DpT3_
	.globl	_ZN4RAJA6detail28hip_unordered_y_block_globalILm1024ENS0_22random_access_iteratorINS0_11WorkStorageINS_6policy9workgroup32constant_stride_array_of_objectsEN8rajaperf23RAJAPoolAllocatorHolderINS_13basic_mempool7MemPoolINS_3hip15PinnedAllocatorEEEE9AllocatorIcEENS0_10DispatcherILN4camp9resources2v18PlatformE8ENS5_15direct_dispatchIJNS0_29HoldHipDeviceXThreadblockLoopINS_17TypedRangeSegmentIllEENS7_4comm9HALO_base6PackerElJEEENSN_ISP_NSR_8UnPackerElJEEEEEENS4_3hip8hip_workILm1024ELb1EEEJEEEE19const_iterator_baseEEENS0_10WorkStructILm16ES10_EElJEEEvT0_DpT3_
	.p2align	8
	.type	_ZN4RAJA6detail28hip_unordered_y_block_globalILm1024ENS0_22random_access_iteratorINS0_11WorkStorageINS_6policy9workgroup32constant_stride_array_of_objectsEN8rajaperf23RAJAPoolAllocatorHolderINS_13basic_mempool7MemPoolINS_3hip15PinnedAllocatorEEEE9AllocatorIcEENS0_10DispatcherILN4camp9resources2v18PlatformE8ENS5_15direct_dispatchIJNS0_29HoldHipDeviceXThreadblockLoopINS_17TypedRangeSegmentIllEENS7_4comm9HALO_base6PackerElJEEENSN_ISP_NSR_8UnPackerElJEEEEEENS4_3hip8hip_workILm1024ELb1EEEJEEEE19const_iterator_baseEEENS0_10WorkStructILm16ES10_EElJEEEvT0_DpT3_,@function
_ZN4RAJA6detail28hip_unordered_y_block_globalILm1024ENS0_22random_access_iteratorINS0_11WorkStorageINS_6policy9workgroup32constant_stride_array_of_objectsEN8rajaperf23RAJAPoolAllocatorHolderINS_13basic_mempool7MemPoolINS_3hip15PinnedAllocatorEEEE9AllocatorIcEENS0_10DispatcherILN4camp9resources2v18PlatformE8ENS5_15direct_dispatchIJNS0_29HoldHipDeviceXThreadblockLoopINS_17TypedRangeSegmentIllEENS7_4comm9HALO_base6PackerElJEEENSN_ISP_NSR_8UnPackerElJEEEEEENS4_3hip8hip_workILm1024ELb1EEEJEEEE19const_iterator_baseEEENS0_10WorkStructILm16ES10_EElJEEEvT0_DpT3_: ; @_ZN4RAJA6detail28hip_unordered_y_block_globalILm1024ENS0_22random_access_iteratorINS0_11WorkStorageINS_6policy9workgroup32constant_stride_array_of_objectsEN8rajaperf23RAJAPoolAllocatorHolderINS_13basic_mempool7MemPoolINS_3hip15PinnedAllocatorEEEE9AllocatorIcEENS0_10DispatcherILN4camp9resources2v18PlatformE8ENS5_15direct_dispatchIJNS0_29HoldHipDeviceXThreadblockLoopINS_17TypedRangeSegmentIllEENS7_4comm9HALO_base6PackerElJEEENSN_ISP_NSR_8UnPackerElJEEEEEENS4_3hip8hip_workILm1024ELb1EEEJEEEE19const_iterator_baseEEENS0_10WorkStructILm16ES10_EElJEEEvT0_DpT3_
; %bb.0:
	s_load_b128 s[4:7], s[0:1], 0x0
	s_bfe_u32 s2, ttmp6, 0x40010
	s_bfe_u32 s3, ttmp6, 0x40004
	s_add_co_i32 s2, s2, 1
	s_getreg_b32 s14, hwreg(HW_REG_IB_STS2, 6, 4)
	s_mul_i32 s2, ttmp7, s2
	s_delay_alu instid0(SALU_CYCLE_1)
	s_add_co_i32 s2, s3, s2
	s_cmp_eq_u32 s14, 0
	s_mov_b32 s3, 0
	s_cselect_b32 s2, ttmp7, s2
	s_wait_kmcnt 0x0
	s_mul_u64 s[2:3], s[6:7], s[2:3]
	s_delay_alu instid0(SALU_CYCLE_1)
	s_add_nc_u64 s[12:13], s[4:5], s[2:3]
	s_mov_b32 s2, -1
	s_load_b32 s15, s[12:13], 0x8
	s_wait_kmcnt 0x0
	s_cmp_lt_i32 s15, 1
	s_cbranch_scc1 .LBB2_7
; %bb.1:
	s_cmp_eq_u32 s15, 1
	s_cbranch_scc0 .LBB2_6
; %bb.2:
	s_load_b32 s17, s[0:1], 0x10
	s_bfe_u32 s2, ttmp6, 0x4000c
	s_and_b32 s3, ttmp6, 15
	s_add_co_i32 s2, s2, 1
	s_add_nc_u64 s[4:5], s[0:1], 16
	s_mul_i32 s2, ttmp9, s2
	v_mov_b32_e32 v3, 0
	s_add_co_i32 s3, s3, s2
	s_cmp_eq_u32 s14, 0
	s_mov_b32 s16, exec_lo
	s_cselect_b32 s6, ttmp9, s3
	s_mov_b32 s3, 0
	s_wait_kmcnt 0x0
	s_cmp_lt_u32 s6, s17
	s_cselect_b32 s2, 12, 18
	s_delay_alu instid0(SALU_CYCLE_1)
	s_add_nc_u64 s[4:5], s[4:5], s[2:3]
	s_load_u16 s2, s[4:5], 0x0
	s_load_b128 s[8:11], s[12:13], 0x10
	s_wait_kmcnt 0x0
	v_mad_u32 v2, s6, s2, v0
	s_sub_nc_u64 s[10:11], s[10:11], s[8:9]
	s_delay_alu instid0(VALU_DEP_1) | instid1(SALU_CYCLE_1)
	v_cmpx_gt_i64_e64 s[10:11], v[2:3]
	s_cbranch_execz .LBB2_5
; %bb.3:
	s_clause 0x1
	s_load_b64 s[18:19], s[12:13], 0x30
	s_load_b128 s[4:7], s[12:13], 0x20
	v_add_nc_u64_e32 v[6:7], s[8:9], v[2:3]
	s_mul_i32 s2, s17, s2
	s_mov_b32 s17, s3
	s_lshl_b64 s[8:9], s[2:3], 3
	s_wait_kmcnt 0x0
	s_delay_alu instid0(VALU_DEP_1)
	v_lshl_add_u64 v[4:5], v[6:7], 2, s[18:19]
	v_lshl_add_u64 v[6:7], v[6:7], 3, s[4:5]
	s_lshl_b64 s[4:5], s[2:3], 2
.LBB2_4:                                ; =>This Inner Loop Header: Depth=1
	flat_load_b64 v[8:9], v[6:7]
	flat_load_b32 v1, v[4:5]
	v_add_nc_u64_e32 v[2:3], s[2:3], v[2:3]
	s_wait_xcnt 0x0
	v_add_nc_u64_e32 v[4:5], s[4:5], v[4:5]
	v_add_nc_u64_e32 v[6:7], s[8:9], v[6:7]
	s_delay_alu instid0(VALU_DEP_3)
	v_cmp_le_i64_e32 vcc_lo, s[10:11], v[2:3]
	s_or_b32 s17, vcc_lo, s17
	s_wait_loadcnt_dscnt 0x0
	flat_store_b64 v1, v[8:9], s[6:7] scale_offset
	s_wait_xcnt 0x0
	s_and_not1_b32 exec_lo, exec_lo, s17
	s_cbranch_execnz .LBB2_4
.LBB2_5:
	s_or_b32 exec_lo, exec_lo, s16
.LBB2_6:
	s_mov_b32 s2, 0
.LBB2_7:
	s_delay_alu instid0(SALU_CYCLE_1)
	s_and_not1_b32 vcc_lo, exec_lo, s2
	s_cbranch_vccnz .LBB2_12
; %bb.8:
	s_cmp_lg_u32 s15, 0
	s_mov_b32 s3, 0
	s_cbranch_scc1 .LBB2_12
; %bb.9:
	s_load_b32 s8, s[0:1], 0x10
	s_bfe_u32 s2, ttmp6, 0x4000c
	s_and_b32 s4, ttmp6, 15
	s_add_co_i32 s2, s2, 1
	s_wait_xcnt 0x0
	s_add_nc_u64 s[0:1], s[0:1], 16
	s_mul_i32 s2, ttmp9, s2
	v_mov_b32_e32 v1, 0
	s_add_co_i32 s4, s4, s2
	s_cmp_eq_u32 s14, 0
	s_cselect_b32 s10, ttmp9, s4
	s_wait_kmcnt 0x0
	s_cmp_lt_u32 s10, s8
	s_cselect_b32 s2, 12, 18
	s_delay_alu instid0(SALU_CYCLE_1)
	s_add_nc_u64 s[0:1], s[0:1], s[2:3]
	s_load_u16 s9, s[0:1], 0x0
	s_load_b128 s[4:7], s[12:13], 0x10
	s_wait_xcnt 0x0
	s_mov_b32 s0, exec_lo
	s_wait_kmcnt 0x0
	v_mad_u32 v0, s10, s9, v0
	s_sub_nc_u64 s[6:7], s[6:7], s[4:5]
	s_delay_alu instid0(VALU_DEP_1) | instid1(SALU_CYCLE_1)
	v_cmpx_gt_i64_e64 s[6:7], v[0:1]
	s_cbranch_execz .LBB2_12
; %bb.10:
	s_clause 0x1
	s_load_b128 s[0:3], s[12:13], 0x20
	s_load_b64 s[10:11], s[12:13], 0x30
	v_add_nc_u64_e32 v[4:5], s[4:5], v[0:1]
	s_mul_i32 s4, s8, s9
	s_mov_b32 s5, 0
	s_delay_alu instid0(SALU_CYCLE_1) | instskip(SKIP_1) | instid1(VALU_DEP_1)
	s_lshl_b64 s[8:9], s[4:5], 2
	s_wait_kmcnt 0x0
	v_lshl_add_u64 v[2:3], v[4:5], 3, s[0:1]
	v_lshl_add_u64 v[4:5], v[4:5], 2, s[10:11]
	s_lshl_b64 s[0:1], s[4:5], 3
	s_mov_b32 s10, s5
.LBB2_11:                               ; =>This Inner Loop Header: Depth=1
	flat_load_b32 v6, v[4:5]
	v_add_nc_u64_e32 v[0:1], s[4:5], v[0:1]
	s_wait_xcnt 0x0
	v_add_nc_u64_e32 v[4:5], s[8:9], v[4:5]
	s_delay_alu instid0(VALU_DEP_2)
	v_cmp_le_i64_e32 vcc_lo, s[6:7], v[0:1]
	s_or_b32 s10, vcc_lo, s10
	s_wait_loadcnt_dscnt 0x0
	flat_load_b64 v[6:7], v6, s[2:3] scale_offset
	s_wait_loadcnt_dscnt 0x0
	flat_store_b64 v[2:3], v[6:7]
	s_wait_xcnt 0x0
	v_add_nc_u64_e32 v[2:3], s[0:1], v[2:3]
	s_and_not1_b32 exec_lo, exec_lo, s10
	s_cbranch_execnz .LBB2_11
.LBB2_12:
	s_endpgm
	.section	.rodata,"a",@progbits
	.p2align	6, 0x0
	.amdhsa_kernel _ZN4RAJA6detail28hip_unordered_y_block_globalILm1024ENS0_22random_access_iteratorINS0_11WorkStorageINS_6policy9workgroup32constant_stride_array_of_objectsEN8rajaperf23RAJAPoolAllocatorHolderINS_13basic_mempool7MemPoolINS_3hip15PinnedAllocatorEEEE9AllocatorIcEENS0_10DispatcherILN4camp9resources2v18PlatformE8ENS5_15direct_dispatchIJNS0_29HoldHipDeviceXThreadblockLoopINS_17TypedRangeSegmentIllEENS7_4comm9HALO_base6PackerElJEEENSN_ISP_NSR_8UnPackerElJEEEEEENS4_3hip8hip_workILm1024ELb1EEEJEEEE19const_iterator_baseEEENS0_10WorkStructILm16ES10_EElJEEEvT0_DpT3_
		.amdhsa_group_segment_fixed_size 0
		.amdhsa_private_segment_fixed_size 0
		.amdhsa_kernarg_size 272
		.amdhsa_user_sgpr_count 2
		.amdhsa_user_sgpr_dispatch_ptr 0
		.amdhsa_user_sgpr_queue_ptr 0
		.amdhsa_user_sgpr_kernarg_segment_ptr 1
		.amdhsa_user_sgpr_dispatch_id 0
		.amdhsa_user_sgpr_kernarg_preload_length 0
		.amdhsa_user_sgpr_kernarg_preload_offset 0
		.amdhsa_user_sgpr_private_segment_size 0
		.amdhsa_wavefront_size32 1
		.amdhsa_uses_dynamic_stack 0
		.amdhsa_enable_private_segment 0
		.amdhsa_system_sgpr_workgroup_id_x 1
		.amdhsa_system_sgpr_workgroup_id_y 1
		.amdhsa_system_sgpr_workgroup_id_z 0
		.amdhsa_system_sgpr_workgroup_info 0
		.amdhsa_system_vgpr_workitem_id 0
		.amdhsa_next_free_vgpr 10
		.amdhsa_next_free_sgpr 20
		.amdhsa_named_barrier_count 0
		.amdhsa_reserve_vcc 1
		.amdhsa_float_round_mode_32 0
		.amdhsa_float_round_mode_16_64 0
		.amdhsa_float_denorm_mode_32 3
		.amdhsa_float_denorm_mode_16_64 3
		.amdhsa_fp16_overflow 0
		.amdhsa_memory_ordered 1
		.amdhsa_forward_progress 1
		.amdhsa_inst_pref_size 6
		.amdhsa_round_robin_scheduling 0
		.amdhsa_exception_fp_ieee_invalid_op 0
		.amdhsa_exception_fp_denorm_src 0
		.amdhsa_exception_fp_ieee_div_zero 0
		.amdhsa_exception_fp_ieee_overflow 0
		.amdhsa_exception_fp_ieee_underflow 0
		.amdhsa_exception_fp_ieee_inexact 0
		.amdhsa_exception_int_div_zero 0
	.end_amdhsa_kernel
	.section	.text._ZN4RAJA6detail28hip_unordered_y_block_globalILm1024ENS0_22random_access_iteratorINS0_11WorkStorageINS_6policy9workgroup32constant_stride_array_of_objectsEN8rajaperf23RAJAPoolAllocatorHolderINS_13basic_mempool7MemPoolINS_3hip15PinnedAllocatorEEEE9AllocatorIcEENS0_10DispatcherILN4camp9resources2v18PlatformE8ENS5_15direct_dispatchIJNS0_29HoldHipDeviceXThreadblockLoopINS_17TypedRangeSegmentIllEENS7_4comm9HALO_base6PackerElJEEENSN_ISP_NSR_8UnPackerElJEEEEEENS4_3hip8hip_workILm1024ELb1EEEJEEEE19const_iterator_baseEEENS0_10WorkStructILm16ES10_EElJEEEvT0_DpT3_,"axG",@progbits,_ZN4RAJA6detail28hip_unordered_y_block_globalILm1024ENS0_22random_access_iteratorINS0_11WorkStorageINS_6policy9workgroup32constant_stride_array_of_objectsEN8rajaperf23RAJAPoolAllocatorHolderINS_13basic_mempool7MemPoolINS_3hip15PinnedAllocatorEEEE9AllocatorIcEENS0_10DispatcherILN4camp9resources2v18PlatformE8ENS5_15direct_dispatchIJNS0_29HoldHipDeviceXThreadblockLoopINS_17TypedRangeSegmentIllEENS7_4comm9HALO_base6PackerElJEEENSN_ISP_NSR_8UnPackerElJEEEEEENS4_3hip8hip_workILm1024ELb1EEEJEEEE19const_iterator_baseEEENS0_10WorkStructILm16ES10_EElJEEEvT0_DpT3_,comdat
.Lfunc_end2:
	.size	_ZN4RAJA6detail28hip_unordered_y_block_globalILm1024ENS0_22random_access_iteratorINS0_11WorkStorageINS_6policy9workgroup32constant_stride_array_of_objectsEN8rajaperf23RAJAPoolAllocatorHolderINS_13basic_mempool7MemPoolINS_3hip15PinnedAllocatorEEEE9AllocatorIcEENS0_10DispatcherILN4camp9resources2v18PlatformE8ENS5_15direct_dispatchIJNS0_29HoldHipDeviceXThreadblockLoopINS_17TypedRangeSegmentIllEENS7_4comm9HALO_base6PackerElJEEENSN_ISP_NSR_8UnPackerElJEEEEEENS4_3hip8hip_workILm1024ELb1EEEJEEEE19const_iterator_baseEEENS0_10WorkStructILm16ES10_EElJEEEvT0_DpT3_, .Lfunc_end2-_ZN4RAJA6detail28hip_unordered_y_block_globalILm1024ENS0_22random_access_iteratorINS0_11WorkStorageINS_6policy9workgroup32constant_stride_array_of_objectsEN8rajaperf23RAJAPoolAllocatorHolderINS_13basic_mempool7MemPoolINS_3hip15PinnedAllocatorEEEE9AllocatorIcEENS0_10DispatcherILN4camp9resources2v18PlatformE8ENS5_15direct_dispatchIJNS0_29HoldHipDeviceXThreadblockLoopINS_17TypedRangeSegmentIllEENS7_4comm9HALO_base6PackerElJEEENSN_ISP_NSR_8UnPackerElJEEEEEENS4_3hip8hip_workILm1024ELb1EEEJEEEE19const_iterator_baseEEENS0_10WorkStructILm16ES10_EElJEEEvT0_DpT3_
                                        ; -- End function
	.set _ZN4RAJA6detail28hip_unordered_y_block_globalILm1024ENS0_22random_access_iteratorINS0_11WorkStorageINS_6policy9workgroup32constant_stride_array_of_objectsEN8rajaperf23RAJAPoolAllocatorHolderINS_13basic_mempool7MemPoolINS_3hip15PinnedAllocatorEEEE9AllocatorIcEENS0_10DispatcherILN4camp9resources2v18PlatformE8ENS5_15direct_dispatchIJNS0_29HoldHipDeviceXThreadblockLoopINS_17TypedRangeSegmentIllEENS7_4comm9HALO_base6PackerElJEEENSN_ISP_NSR_8UnPackerElJEEEEEENS4_3hip8hip_workILm1024ELb1EEEJEEEE19const_iterator_baseEEENS0_10WorkStructILm16ES10_EElJEEEvT0_DpT3_.num_vgpr, 10
	.set _ZN4RAJA6detail28hip_unordered_y_block_globalILm1024ENS0_22random_access_iteratorINS0_11WorkStorageINS_6policy9workgroup32constant_stride_array_of_objectsEN8rajaperf23RAJAPoolAllocatorHolderINS_13basic_mempool7MemPoolINS_3hip15PinnedAllocatorEEEE9AllocatorIcEENS0_10DispatcherILN4camp9resources2v18PlatformE8ENS5_15direct_dispatchIJNS0_29HoldHipDeviceXThreadblockLoopINS_17TypedRangeSegmentIllEENS7_4comm9HALO_base6PackerElJEEENSN_ISP_NSR_8UnPackerElJEEEEEENS4_3hip8hip_workILm1024ELb1EEEJEEEE19const_iterator_baseEEENS0_10WorkStructILm16ES10_EElJEEEvT0_DpT3_.num_agpr, 0
	.set _ZN4RAJA6detail28hip_unordered_y_block_globalILm1024ENS0_22random_access_iteratorINS0_11WorkStorageINS_6policy9workgroup32constant_stride_array_of_objectsEN8rajaperf23RAJAPoolAllocatorHolderINS_13basic_mempool7MemPoolINS_3hip15PinnedAllocatorEEEE9AllocatorIcEENS0_10DispatcherILN4camp9resources2v18PlatformE8ENS5_15direct_dispatchIJNS0_29HoldHipDeviceXThreadblockLoopINS_17TypedRangeSegmentIllEENS7_4comm9HALO_base6PackerElJEEENSN_ISP_NSR_8UnPackerElJEEEEEENS4_3hip8hip_workILm1024ELb1EEEJEEEE19const_iterator_baseEEENS0_10WorkStructILm16ES10_EElJEEEvT0_DpT3_.numbered_sgpr, 20
	.set _ZN4RAJA6detail28hip_unordered_y_block_globalILm1024ENS0_22random_access_iteratorINS0_11WorkStorageINS_6policy9workgroup32constant_stride_array_of_objectsEN8rajaperf23RAJAPoolAllocatorHolderINS_13basic_mempool7MemPoolINS_3hip15PinnedAllocatorEEEE9AllocatorIcEENS0_10DispatcherILN4camp9resources2v18PlatformE8ENS5_15direct_dispatchIJNS0_29HoldHipDeviceXThreadblockLoopINS_17TypedRangeSegmentIllEENS7_4comm9HALO_base6PackerElJEEENSN_ISP_NSR_8UnPackerElJEEEEEENS4_3hip8hip_workILm1024ELb1EEEJEEEE19const_iterator_baseEEENS0_10WorkStructILm16ES10_EElJEEEvT0_DpT3_.num_named_barrier, 0
	.set _ZN4RAJA6detail28hip_unordered_y_block_globalILm1024ENS0_22random_access_iteratorINS0_11WorkStorageINS_6policy9workgroup32constant_stride_array_of_objectsEN8rajaperf23RAJAPoolAllocatorHolderINS_13basic_mempool7MemPoolINS_3hip15PinnedAllocatorEEEE9AllocatorIcEENS0_10DispatcherILN4camp9resources2v18PlatformE8ENS5_15direct_dispatchIJNS0_29HoldHipDeviceXThreadblockLoopINS_17TypedRangeSegmentIllEENS7_4comm9HALO_base6PackerElJEEENSN_ISP_NSR_8UnPackerElJEEEEEENS4_3hip8hip_workILm1024ELb1EEEJEEEE19const_iterator_baseEEENS0_10WorkStructILm16ES10_EElJEEEvT0_DpT3_.private_seg_size, 0
	.set _ZN4RAJA6detail28hip_unordered_y_block_globalILm1024ENS0_22random_access_iteratorINS0_11WorkStorageINS_6policy9workgroup32constant_stride_array_of_objectsEN8rajaperf23RAJAPoolAllocatorHolderINS_13basic_mempool7MemPoolINS_3hip15PinnedAllocatorEEEE9AllocatorIcEENS0_10DispatcherILN4camp9resources2v18PlatformE8ENS5_15direct_dispatchIJNS0_29HoldHipDeviceXThreadblockLoopINS_17TypedRangeSegmentIllEENS7_4comm9HALO_base6PackerElJEEENSN_ISP_NSR_8UnPackerElJEEEEEENS4_3hip8hip_workILm1024ELb1EEEJEEEE19const_iterator_baseEEENS0_10WorkStructILm16ES10_EElJEEEvT0_DpT3_.uses_vcc, 1
	.set _ZN4RAJA6detail28hip_unordered_y_block_globalILm1024ENS0_22random_access_iteratorINS0_11WorkStorageINS_6policy9workgroup32constant_stride_array_of_objectsEN8rajaperf23RAJAPoolAllocatorHolderINS_13basic_mempool7MemPoolINS_3hip15PinnedAllocatorEEEE9AllocatorIcEENS0_10DispatcherILN4camp9resources2v18PlatformE8ENS5_15direct_dispatchIJNS0_29HoldHipDeviceXThreadblockLoopINS_17TypedRangeSegmentIllEENS7_4comm9HALO_base6PackerElJEEENSN_ISP_NSR_8UnPackerElJEEEEEENS4_3hip8hip_workILm1024ELb1EEEJEEEE19const_iterator_baseEEENS0_10WorkStructILm16ES10_EElJEEEvT0_DpT3_.uses_flat_scratch, 0
	.set _ZN4RAJA6detail28hip_unordered_y_block_globalILm1024ENS0_22random_access_iteratorINS0_11WorkStorageINS_6policy9workgroup32constant_stride_array_of_objectsEN8rajaperf23RAJAPoolAllocatorHolderINS_13basic_mempool7MemPoolINS_3hip15PinnedAllocatorEEEE9AllocatorIcEENS0_10DispatcherILN4camp9resources2v18PlatformE8ENS5_15direct_dispatchIJNS0_29HoldHipDeviceXThreadblockLoopINS_17TypedRangeSegmentIllEENS7_4comm9HALO_base6PackerElJEEENSN_ISP_NSR_8UnPackerElJEEEEEENS4_3hip8hip_workILm1024ELb1EEEJEEEE19const_iterator_baseEEENS0_10WorkStructILm16ES10_EElJEEEvT0_DpT3_.has_dyn_sized_stack, 0
	.set _ZN4RAJA6detail28hip_unordered_y_block_globalILm1024ENS0_22random_access_iteratorINS0_11WorkStorageINS_6policy9workgroup32constant_stride_array_of_objectsEN8rajaperf23RAJAPoolAllocatorHolderINS_13basic_mempool7MemPoolINS_3hip15PinnedAllocatorEEEE9AllocatorIcEENS0_10DispatcherILN4camp9resources2v18PlatformE8ENS5_15direct_dispatchIJNS0_29HoldHipDeviceXThreadblockLoopINS_17TypedRangeSegmentIllEENS7_4comm9HALO_base6PackerElJEEENSN_ISP_NSR_8UnPackerElJEEEEEENS4_3hip8hip_workILm1024ELb1EEEJEEEE19const_iterator_baseEEENS0_10WorkStructILm16ES10_EElJEEEvT0_DpT3_.has_recursion, 0
	.set _ZN4RAJA6detail28hip_unordered_y_block_globalILm1024ENS0_22random_access_iteratorINS0_11WorkStorageINS_6policy9workgroup32constant_stride_array_of_objectsEN8rajaperf23RAJAPoolAllocatorHolderINS_13basic_mempool7MemPoolINS_3hip15PinnedAllocatorEEEE9AllocatorIcEENS0_10DispatcherILN4camp9resources2v18PlatformE8ENS5_15direct_dispatchIJNS0_29HoldHipDeviceXThreadblockLoopINS_17TypedRangeSegmentIllEENS7_4comm9HALO_base6PackerElJEEENSN_ISP_NSR_8UnPackerElJEEEEEENS4_3hip8hip_workILm1024ELb1EEEJEEEE19const_iterator_baseEEENS0_10WorkStructILm16ES10_EElJEEEvT0_DpT3_.has_indirect_call, 0
	.section	.AMDGPU.csdata,"",@progbits
; Kernel info:
; codeLenInByte = 688
; TotalNumSgprs: 22
; NumVgprs: 10
; ScratchSize: 0
; MemoryBound: 0
; FloatMode: 240
; IeeeMode: 1
; LDSByteSize: 0 bytes/workgroup (compile time only)
; SGPRBlocks: 0
; VGPRBlocks: 0
; NumSGPRsForWavesPerEU: 22
; NumVGPRsForWavesPerEU: 10
; NamedBarCnt: 0
; Occupancy: 16
; WaveLimiterHint : 1
; COMPUTE_PGM_RSRC2:SCRATCH_EN: 0
; COMPUTE_PGM_RSRC2:USER_SGPR: 2
; COMPUTE_PGM_RSRC2:TRAP_HANDLER: 0
; COMPUTE_PGM_RSRC2:TGID_X_EN: 1
; COMPUTE_PGM_RSRC2:TGID_Y_EN: 1
; COMPUTE_PGM_RSRC2:TGID_Z_EN: 0
; COMPUTE_PGM_RSRC2:TIDIG_COMP_CNT: 0
	.section	.text._ZN4RAJA6detail3hip16get_value_globalINS0_10DispatcherILN4camp9resources2v18PlatformE8ENS_6policy9workgroup31indirect_function_call_dispatchENS8_3hip8hip_workILm1024ELb1EEEJEE20DeviceInvokerFactoryINS0_29HoldHipDeviceXThreadblockLoopINS_17TypedRangeSegmentIllEEN8rajaperf4comm9HALO_base6PackerElJEEEEEEEvPNT_10value_typeESP_,"axG",@progbits,_ZN4RAJA6detail3hip16get_value_globalINS0_10DispatcherILN4camp9resources2v18PlatformE8ENS_6policy9workgroup31indirect_function_call_dispatchENS8_3hip8hip_workILm1024ELb1EEEJEE20DeviceInvokerFactoryINS0_29HoldHipDeviceXThreadblockLoopINS_17TypedRangeSegmentIllEEN8rajaperf4comm9HALO_base6PackerElJEEEEEEEvPNT_10value_typeESP_,comdat
	.protected	_ZN4RAJA6detail3hip16get_value_globalINS0_10DispatcherILN4camp9resources2v18PlatformE8ENS_6policy9workgroup31indirect_function_call_dispatchENS8_3hip8hip_workILm1024ELb1EEEJEE20DeviceInvokerFactoryINS0_29HoldHipDeviceXThreadblockLoopINS_17TypedRangeSegmentIllEEN8rajaperf4comm9HALO_base6PackerElJEEEEEEEvPNT_10value_typeESP_ ; -- Begin function _ZN4RAJA6detail3hip16get_value_globalINS0_10DispatcherILN4camp9resources2v18PlatformE8ENS_6policy9workgroup31indirect_function_call_dispatchENS8_3hip8hip_workILm1024ELb1EEEJEE20DeviceInvokerFactoryINS0_29HoldHipDeviceXThreadblockLoopINS_17TypedRangeSegmentIllEEN8rajaperf4comm9HALO_base6PackerElJEEEEEEEvPNT_10value_typeESP_
	.globl	_ZN4RAJA6detail3hip16get_value_globalINS0_10DispatcherILN4camp9resources2v18PlatformE8ENS_6policy9workgroup31indirect_function_call_dispatchENS8_3hip8hip_workILm1024ELb1EEEJEE20DeviceInvokerFactoryINS0_29HoldHipDeviceXThreadblockLoopINS_17TypedRangeSegmentIllEEN8rajaperf4comm9HALO_base6PackerElJEEEEEEEvPNT_10value_typeESP_
	.p2align	8
	.type	_ZN4RAJA6detail3hip16get_value_globalINS0_10DispatcherILN4camp9resources2v18PlatformE8ENS_6policy9workgroup31indirect_function_call_dispatchENS8_3hip8hip_workILm1024ELb1EEEJEE20DeviceInvokerFactoryINS0_29HoldHipDeviceXThreadblockLoopINS_17TypedRangeSegmentIllEEN8rajaperf4comm9HALO_base6PackerElJEEEEEEEvPNT_10value_typeESP_,@function
_ZN4RAJA6detail3hip16get_value_globalINS0_10DispatcherILN4camp9resources2v18PlatformE8ENS_6policy9workgroup31indirect_function_call_dispatchENS8_3hip8hip_workILm1024ELb1EEEJEE20DeviceInvokerFactoryINS0_29HoldHipDeviceXThreadblockLoopINS_17TypedRangeSegmentIllEEN8rajaperf4comm9HALO_base6PackerElJEEEEEEEvPNT_10value_typeESP_: ; @_ZN4RAJA6detail3hip16get_value_globalINS0_10DispatcherILN4camp9resources2v18PlatformE8ENS_6policy9workgroup31indirect_function_call_dispatchENS8_3hip8hip_workILm1024ELb1EEEJEE20DeviceInvokerFactoryINS0_29HoldHipDeviceXThreadblockLoopINS_17TypedRangeSegmentIllEEN8rajaperf4comm9HALO_base6PackerElJEEEEEEEvPNT_10value_typeESP_
; %bb.0:
	s_load_b64 s[0:1], s[0:1], 0x0
	s_get_pc_i64 s[2:3]
	s_add_nc_u64 s[2:3], s[2:3], _ZN4RAJA6detail10DispatcherILN4camp9resources2v18PlatformE8ENS_6policy9workgroup31indirect_function_call_dispatchENS6_3hip8hip_workILm1024ELb1EEEJEE15s_device_invokeINS0_29HoldHipDeviceXThreadblockLoopINS_17TypedRangeSegmentIllEEN8rajaperf4comm9HALO_base6PackerElJEEEEEvNS0_29DispatcherVoidConstPtrWrapperISB_EE@rel64+4
	v_mov_b32_e32 v2, 0
	v_mov_b64_e32 v[0:1], s[2:3]
	s_wait_kmcnt 0x0
	global_store_b64 v2, v[0:1], s[0:1]
	s_endpgm
	.section	.rodata,"a",@progbits
	.p2align	6, 0x0
	.amdhsa_kernel _ZN4RAJA6detail3hip16get_value_globalINS0_10DispatcherILN4camp9resources2v18PlatformE8ENS_6policy9workgroup31indirect_function_call_dispatchENS8_3hip8hip_workILm1024ELb1EEEJEE20DeviceInvokerFactoryINS0_29HoldHipDeviceXThreadblockLoopINS_17TypedRangeSegmentIllEEN8rajaperf4comm9HALO_base6PackerElJEEEEEEEvPNT_10value_typeESP_
		.amdhsa_group_segment_fixed_size 0
		.amdhsa_private_segment_fixed_size 0
		.amdhsa_kernarg_size 12
		.amdhsa_user_sgpr_count 2
		.amdhsa_user_sgpr_dispatch_ptr 0
		.amdhsa_user_sgpr_queue_ptr 0
		.amdhsa_user_sgpr_kernarg_segment_ptr 1
		.amdhsa_user_sgpr_dispatch_id 0
		.amdhsa_user_sgpr_kernarg_preload_length 0
		.amdhsa_user_sgpr_kernarg_preload_offset 0
		.amdhsa_user_sgpr_private_segment_size 0
		.amdhsa_wavefront_size32 1
		.amdhsa_uses_dynamic_stack 0
		.amdhsa_enable_private_segment 0
		.amdhsa_system_sgpr_workgroup_id_x 1
		.amdhsa_system_sgpr_workgroup_id_y 0
		.amdhsa_system_sgpr_workgroup_id_z 0
		.amdhsa_system_sgpr_workgroup_info 0
		.amdhsa_system_vgpr_workitem_id 0
		.amdhsa_next_free_vgpr 3
		.amdhsa_next_free_sgpr 4
		.amdhsa_named_barrier_count 0
		.amdhsa_reserve_vcc 0
		.amdhsa_float_round_mode_32 0
		.amdhsa_float_round_mode_16_64 0
		.amdhsa_float_denorm_mode_32 3
		.amdhsa_float_denorm_mode_16_64 3
		.amdhsa_fp16_overflow 0
		.amdhsa_memory_ordered 1
		.amdhsa_forward_progress 1
		.amdhsa_inst_pref_size 1
		.amdhsa_round_robin_scheduling 0
		.amdhsa_exception_fp_ieee_invalid_op 0
		.amdhsa_exception_fp_denorm_src 0
		.amdhsa_exception_fp_ieee_div_zero 0
		.amdhsa_exception_fp_ieee_overflow 0
		.amdhsa_exception_fp_ieee_underflow 0
		.amdhsa_exception_fp_ieee_inexact 0
		.amdhsa_exception_int_div_zero 0
	.end_amdhsa_kernel
	.section	.text._ZN4RAJA6detail3hip16get_value_globalINS0_10DispatcherILN4camp9resources2v18PlatformE8ENS_6policy9workgroup31indirect_function_call_dispatchENS8_3hip8hip_workILm1024ELb1EEEJEE20DeviceInvokerFactoryINS0_29HoldHipDeviceXThreadblockLoopINS_17TypedRangeSegmentIllEEN8rajaperf4comm9HALO_base6PackerElJEEEEEEEvPNT_10value_typeESP_,"axG",@progbits,_ZN4RAJA6detail3hip16get_value_globalINS0_10DispatcherILN4camp9resources2v18PlatformE8ENS_6policy9workgroup31indirect_function_call_dispatchENS8_3hip8hip_workILm1024ELb1EEEJEE20DeviceInvokerFactoryINS0_29HoldHipDeviceXThreadblockLoopINS_17TypedRangeSegmentIllEEN8rajaperf4comm9HALO_base6PackerElJEEEEEEEvPNT_10value_typeESP_,comdat
.Lfunc_end3:
	.size	_ZN4RAJA6detail3hip16get_value_globalINS0_10DispatcherILN4camp9resources2v18PlatformE8ENS_6policy9workgroup31indirect_function_call_dispatchENS8_3hip8hip_workILm1024ELb1EEEJEE20DeviceInvokerFactoryINS0_29HoldHipDeviceXThreadblockLoopINS_17TypedRangeSegmentIllEEN8rajaperf4comm9HALO_base6PackerElJEEEEEEEvPNT_10value_typeESP_, .Lfunc_end3-_ZN4RAJA6detail3hip16get_value_globalINS0_10DispatcherILN4camp9resources2v18PlatformE8ENS_6policy9workgroup31indirect_function_call_dispatchENS8_3hip8hip_workILm1024ELb1EEEJEE20DeviceInvokerFactoryINS0_29HoldHipDeviceXThreadblockLoopINS_17TypedRangeSegmentIllEEN8rajaperf4comm9HALO_base6PackerElJEEEEEEEvPNT_10value_typeESP_
                                        ; -- End function
	.set _ZN4RAJA6detail3hip16get_value_globalINS0_10DispatcherILN4camp9resources2v18PlatformE8ENS_6policy9workgroup31indirect_function_call_dispatchENS8_3hip8hip_workILm1024ELb1EEEJEE20DeviceInvokerFactoryINS0_29HoldHipDeviceXThreadblockLoopINS_17TypedRangeSegmentIllEEN8rajaperf4comm9HALO_base6PackerElJEEEEEEEvPNT_10value_typeESP_.num_vgpr, 3
	.set _ZN4RAJA6detail3hip16get_value_globalINS0_10DispatcherILN4camp9resources2v18PlatformE8ENS_6policy9workgroup31indirect_function_call_dispatchENS8_3hip8hip_workILm1024ELb1EEEJEE20DeviceInvokerFactoryINS0_29HoldHipDeviceXThreadblockLoopINS_17TypedRangeSegmentIllEEN8rajaperf4comm9HALO_base6PackerElJEEEEEEEvPNT_10value_typeESP_.num_agpr, 0
	.set _ZN4RAJA6detail3hip16get_value_globalINS0_10DispatcherILN4camp9resources2v18PlatformE8ENS_6policy9workgroup31indirect_function_call_dispatchENS8_3hip8hip_workILm1024ELb1EEEJEE20DeviceInvokerFactoryINS0_29HoldHipDeviceXThreadblockLoopINS_17TypedRangeSegmentIllEEN8rajaperf4comm9HALO_base6PackerElJEEEEEEEvPNT_10value_typeESP_.numbered_sgpr, 4
	.set _ZN4RAJA6detail3hip16get_value_globalINS0_10DispatcherILN4camp9resources2v18PlatformE8ENS_6policy9workgroup31indirect_function_call_dispatchENS8_3hip8hip_workILm1024ELb1EEEJEE20DeviceInvokerFactoryINS0_29HoldHipDeviceXThreadblockLoopINS_17TypedRangeSegmentIllEEN8rajaperf4comm9HALO_base6PackerElJEEEEEEEvPNT_10value_typeESP_.num_named_barrier, 0
	.set _ZN4RAJA6detail3hip16get_value_globalINS0_10DispatcherILN4camp9resources2v18PlatformE8ENS_6policy9workgroup31indirect_function_call_dispatchENS8_3hip8hip_workILm1024ELb1EEEJEE20DeviceInvokerFactoryINS0_29HoldHipDeviceXThreadblockLoopINS_17TypedRangeSegmentIllEEN8rajaperf4comm9HALO_base6PackerElJEEEEEEEvPNT_10value_typeESP_.private_seg_size, 0
	.set _ZN4RAJA6detail3hip16get_value_globalINS0_10DispatcherILN4camp9resources2v18PlatformE8ENS_6policy9workgroup31indirect_function_call_dispatchENS8_3hip8hip_workILm1024ELb1EEEJEE20DeviceInvokerFactoryINS0_29HoldHipDeviceXThreadblockLoopINS_17TypedRangeSegmentIllEEN8rajaperf4comm9HALO_base6PackerElJEEEEEEEvPNT_10value_typeESP_.uses_vcc, 0
	.set _ZN4RAJA6detail3hip16get_value_globalINS0_10DispatcherILN4camp9resources2v18PlatformE8ENS_6policy9workgroup31indirect_function_call_dispatchENS8_3hip8hip_workILm1024ELb1EEEJEE20DeviceInvokerFactoryINS0_29HoldHipDeviceXThreadblockLoopINS_17TypedRangeSegmentIllEEN8rajaperf4comm9HALO_base6PackerElJEEEEEEEvPNT_10value_typeESP_.uses_flat_scratch, 0
	.set _ZN4RAJA6detail3hip16get_value_globalINS0_10DispatcherILN4camp9resources2v18PlatformE8ENS_6policy9workgroup31indirect_function_call_dispatchENS8_3hip8hip_workILm1024ELb1EEEJEE20DeviceInvokerFactoryINS0_29HoldHipDeviceXThreadblockLoopINS_17TypedRangeSegmentIllEEN8rajaperf4comm9HALO_base6PackerElJEEEEEEEvPNT_10value_typeESP_.has_dyn_sized_stack, 0
	.set _ZN4RAJA6detail3hip16get_value_globalINS0_10DispatcherILN4camp9resources2v18PlatformE8ENS_6policy9workgroup31indirect_function_call_dispatchENS8_3hip8hip_workILm1024ELb1EEEJEE20DeviceInvokerFactoryINS0_29HoldHipDeviceXThreadblockLoopINS_17TypedRangeSegmentIllEEN8rajaperf4comm9HALO_base6PackerElJEEEEEEEvPNT_10value_typeESP_.has_recursion, 0
	.set _ZN4RAJA6detail3hip16get_value_globalINS0_10DispatcherILN4camp9resources2v18PlatformE8ENS_6policy9workgroup31indirect_function_call_dispatchENS8_3hip8hip_workILm1024ELb1EEEJEE20DeviceInvokerFactoryINS0_29HoldHipDeviceXThreadblockLoopINS_17TypedRangeSegmentIllEEN8rajaperf4comm9HALO_base6PackerElJEEEEEEEvPNT_10value_typeESP_.has_indirect_call, 0
	.section	.AMDGPU.csdata,"",@progbits
; Kernel info:
; codeLenInByte = 52
; TotalNumSgprs: 4
; NumVgprs: 3
; ScratchSize: 0
; MemoryBound: 0
; FloatMode: 240
; IeeeMode: 1
; LDSByteSize: 0 bytes/workgroup (compile time only)
; SGPRBlocks: 0
; VGPRBlocks: 0
; NumSGPRsForWavesPerEU: 4
; NumVGPRsForWavesPerEU: 3
; NamedBarCnt: 0
; Occupancy: 16
; WaveLimiterHint : 0
; COMPUTE_PGM_RSRC2:SCRATCH_EN: 0
; COMPUTE_PGM_RSRC2:USER_SGPR: 2
; COMPUTE_PGM_RSRC2:TRAP_HANDLER: 0
; COMPUTE_PGM_RSRC2:TGID_X_EN: 1
; COMPUTE_PGM_RSRC2:TGID_Y_EN: 0
; COMPUTE_PGM_RSRC2:TGID_Z_EN: 0
; COMPUTE_PGM_RSRC2:TIDIG_COMP_CNT: 0
	.text
	.p2align	2                               ; -- Begin function _ZN4RAJA6detail10DispatcherILN4camp9resources2v18PlatformE8ENS_6policy9workgroup31indirect_function_call_dispatchENS6_3hip8hip_workILm1024ELb1EEEJEE15s_device_invokeINS0_29HoldHipDeviceXThreadblockLoopINS_17TypedRangeSegmentIllEEN8rajaperf4comm9HALO_base6PackerElJEEEEEvNS0_29DispatcherVoidConstPtrWrapperISB_EE
	.type	_ZN4RAJA6detail10DispatcherILN4camp9resources2v18PlatformE8ENS_6policy9workgroup31indirect_function_call_dispatchENS6_3hip8hip_workILm1024ELb1EEEJEE15s_device_invokeINS0_29HoldHipDeviceXThreadblockLoopINS_17TypedRangeSegmentIllEEN8rajaperf4comm9HALO_base6PackerElJEEEEEvNS0_29DispatcherVoidConstPtrWrapperISB_EE,@function
_ZN4RAJA6detail10DispatcherILN4camp9resources2v18PlatformE8ENS_6policy9workgroup31indirect_function_call_dispatchENS6_3hip8hip_workILm1024ELb1EEEJEE15s_device_invokeINS0_29HoldHipDeviceXThreadblockLoopINS_17TypedRangeSegmentIllEEN8rajaperf4comm9HALO_base6PackerElJEEEEEvNS0_29DispatcherVoidConstPtrWrapperISB_EE: ; @_ZN4RAJA6detail10DispatcherILN4camp9resources2v18PlatformE8ENS_6policy9workgroup31indirect_function_call_dispatchENS6_3hip8hip_workILm1024ELb1EEEJEE15s_device_invokeINS0_29HoldHipDeviceXThreadblockLoopINS_17TypedRangeSegmentIllEEN8rajaperf4comm9HALO_base6PackerElJEEEEEvNS0_29DispatcherVoidConstPtrWrapperISB_EE
; %bb.0:
	s_wait_loadcnt_dscnt 0x0
	s_wait_kmcnt 0x0
	flat_load_b128 v[6:9], v[0:1]
	s_load_b32 s2, s[8:9], 0x0
	s_bfe_u32 s0, ttmp6, 0x4000c
	s_and_b32 s1, ttmp6, 15
	s_add_co_i32 s0, s0, 1
	s_getreg_b32 s3, hwreg(HW_REG_IB_STS2, 6, 4)
	s_mul_i32 s0, ttmp9, s0
	v_and_b32_e32 v2, 0x3ff, v31
	s_add_co_i32 s1, s1, s0
	s_cmp_eq_u32 s3, 0
	v_mov_b32_e32 v11, 0
	s_cselect_b32 s3, ttmp9, s1
	s_mov_b32 s1, 0
	s_mov_b32 s6, exec_lo
	s_wait_kmcnt 0x0
	s_cmp_lt_u32 s3, s2
	s_cselect_b32 s0, 12, 18
	s_delay_alu instid0(SALU_CYCLE_1)
	s_add_nc_u64 s[4:5], s[8:9], s[0:1]
	s_load_u16 s0, s[4:5], 0x0
	s_wait_kmcnt 0x0
	v_mad_u32 v10, s3, s0, v2
	s_wait_loadcnt_dscnt 0x0
	v_sub_nc_u64_e32 v[8:9], v[8:9], v[6:7]
	s_delay_alu instid0(VALU_DEP_1)
	v_cmpx_gt_i64_e64 v[8:9], v[10:11]
	s_cbranch_execz .LBB4_3
; %bb.1:
	s_clause 0x1
	flat_load_b128 v[2:5], v[0:1] offset:16
	flat_load_b64 v[12:13], v[0:1] offset:32
	s_load_u16 s3, s[8:9], 0x12
	v_add_nc_u64_e32 v[6:7], v[6:7], v[10:11]
	s_mov_b32 s7, s1
	s_wait_kmcnt 0x0
	s_cmp_lg_u32 s3, 0
	s_cselect_b32 s3, -1, 0
	s_delay_alu instid0(SALU_CYCLE_1) | instskip(SKIP_1) | instid1(SALU_CYCLE_1)
	s_cmp_lg_u32 s3, 0
	s_add_co_ci_u32 s2, s2, 0
	s_mul_i32 s0, s2, s0
	s_delay_alu instid0(SALU_CYCLE_1)
	s_lshl_b64 s[2:3], s[0:1], 3
	s_lshl_b64 s[4:5], s[0:1], 2
	s_wait_loadcnt_dscnt 0x101
	v_lshl_add_u64 v[0:1], v[6:7], 3, v[2:3]
	s_wait_loadcnt_dscnt 0x0
	v_lshl_add_u64 v[2:3], v[6:7], 2, v[12:13]
.LBB4_2:                                ; =>This Inner Loop Header: Depth=1
	flat_load_b32 v6, v[2:3]
	v_add_nc_u64_e32 v[10:11], s[0:1], v[10:11]
	s_wait_xcnt 0x0
	v_add_nc_u64_e32 v[2:3], s[4:5], v[2:3]
	s_delay_alu instid0(VALU_DEP_2) | instskip(SKIP_3) | instid1(VALU_DEP_1)
	v_cmp_ge_i64_e32 vcc_lo, v[10:11], v[8:9]
	s_or_b32 s7, vcc_lo, s7
	s_wait_loadcnt_dscnt 0x0
	v_ashrrev_i32_e32 v7, 31, v6
	v_lshl_add_u64 v[6:7], v[6:7], 3, v[4:5]
	flat_load_b64 v[6:7], v[6:7]
	s_wait_loadcnt_dscnt 0x0
	flat_store_b64 v[0:1], v[6:7]
	s_wait_xcnt 0x0
	v_add_nc_u64_e32 v[0:1], s[2:3], v[0:1]
	s_and_not1_b32 exec_lo, exec_lo, s7
	s_cbranch_execnz .LBB4_2
.LBB4_3:
	s_or_b32 exec_lo, exec_lo, s6
	s_wait_dscnt 0x0
	s_set_pc_i64 s[30:31]
.Lfunc_end4:
	.size	_ZN4RAJA6detail10DispatcherILN4camp9resources2v18PlatformE8ENS_6policy9workgroup31indirect_function_call_dispatchENS6_3hip8hip_workILm1024ELb1EEEJEE15s_device_invokeINS0_29HoldHipDeviceXThreadblockLoopINS_17TypedRangeSegmentIllEEN8rajaperf4comm9HALO_base6PackerElJEEEEEvNS0_29DispatcherVoidConstPtrWrapperISB_EE, .Lfunc_end4-_ZN4RAJA6detail10DispatcherILN4camp9resources2v18PlatformE8ENS_6policy9workgroup31indirect_function_call_dispatchENS6_3hip8hip_workILm1024ELb1EEEJEE15s_device_invokeINS0_29HoldHipDeviceXThreadblockLoopINS_17TypedRangeSegmentIllEEN8rajaperf4comm9HALO_base6PackerElJEEEEEvNS0_29DispatcherVoidConstPtrWrapperISB_EE
                                        ; -- End function
	.set .L_ZN4RAJA6detail10DispatcherILN4camp9resources2v18PlatformE8ENS_6policy9workgroup31indirect_function_call_dispatchENS6_3hip8hip_workILm1024ELb1EEEJEE15s_device_invokeINS0_29HoldHipDeviceXThreadblockLoopINS_17TypedRangeSegmentIllEEN8rajaperf4comm9HALO_base6PackerElJEEEEEvNS0_29DispatcherVoidConstPtrWrapperISB_EE.num_vgpr, 32
	.set .L_ZN4RAJA6detail10DispatcherILN4camp9resources2v18PlatformE8ENS_6policy9workgroup31indirect_function_call_dispatchENS6_3hip8hip_workILm1024ELb1EEEJEE15s_device_invokeINS0_29HoldHipDeviceXThreadblockLoopINS_17TypedRangeSegmentIllEEN8rajaperf4comm9HALO_base6PackerElJEEEEEvNS0_29DispatcherVoidConstPtrWrapperISB_EE.num_agpr, 0
	.set .L_ZN4RAJA6detail10DispatcherILN4camp9resources2v18PlatformE8ENS_6policy9workgroup31indirect_function_call_dispatchENS6_3hip8hip_workILm1024ELb1EEEJEE15s_device_invokeINS0_29HoldHipDeviceXThreadblockLoopINS_17TypedRangeSegmentIllEEN8rajaperf4comm9HALO_base6PackerElJEEEEEvNS0_29DispatcherVoidConstPtrWrapperISB_EE.numbered_sgpr, 32
	.set .L_ZN4RAJA6detail10DispatcherILN4camp9resources2v18PlatformE8ENS_6policy9workgroup31indirect_function_call_dispatchENS6_3hip8hip_workILm1024ELb1EEEJEE15s_device_invokeINS0_29HoldHipDeviceXThreadblockLoopINS_17TypedRangeSegmentIllEEN8rajaperf4comm9HALO_base6PackerElJEEEEEvNS0_29DispatcherVoidConstPtrWrapperISB_EE.num_named_barrier, 0
	.set .L_ZN4RAJA6detail10DispatcherILN4camp9resources2v18PlatformE8ENS_6policy9workgroup31indirect_function_call_dispatchENS6_3hip8hip_workILm1024ELb1EEEJEE15s_device_invokeINS0_29HoldHipDeviceXThreadblockLoopINS_17TypedRangeSegmentIllEEN8rajaperf4comm9HALO_base6PackerElJEEEEEvNS0_29DispatcherVoidConstPtrWrapperISB_EE.private_seg_size, 0
	.set .L_ZN4RAJA6detail10DispatcherILN4camp9resources2v18PlatformE8ENS_6policy9workgroup31indirect_function_call_dispatchENS6_3hip8hip_workILm1024ELb1EEEJEE15s_device_invokeINS0_29HoldHipDeviceXThreadblockLoopINS_17TypedRangeSegmentIllEEN8rajaperf4comm9HALO_base6PackerElJEEEEEvNS0_29DispatcherVoidConstPtrWrapperISB_EE.uses_vcc, 1
	.set .L_ZN4RAJA6detail10DispatcherILN4camp9resources2v18PlatformE8ENS_6policy9workgroup31indirect_function_call_dispatchENS6_3hip8hip_workILm1024ELb1EEEJEE15s_device_invokeINS0_29HoldHipDeviceXThreadblockLoopINS_17TypedRangeSegmentIllEEN8rajaperf4comm9HALO_base6PackerElJEEEEEvNS0_29DispatcherVoidConstPtrWrapperISB_EE.uses_flat_scratch, 1
	.set .L_ZN4RAJA6detail10DispatcherILN4camp9resources2v18PlatformE8ENS_6policy9workgroup31indirect_function_call_dispatchENS6_3hip8hip_workILm1024ELb1EEEJEE15s_device_invokeINS0_29HoldHipDeviceXThreadblockLoopINS_17TypedRangeSegmentIllEEN8rajaperf4comm9HALO_base6PackerElJEEEEEvNS0_29DispatcherVoidConstPtrWrapperISB_EE.has_dyn_sized_stack, 0
	.set .L_ZN4RAJA6detail10DispatcherILN4camp9resources2v18PlatformE8ENS_6policy9workgroup31indirect_function_call_dispatchENS6_3hip8hip_workILm1024ELb1EEEJEE15s_device_invokeINS0_29HoldHipDeviceXThreadblockLoopINS_17TypedRangeSegmentIllEEN8rajaperf4comm9HALO_base6PackerElJEEEEEvNS0_29DispatcherVoidConstPtrWrapperISB_EE.has_recursion, 0
	.set .L_ZN4RAJA6detail10DispatcherILN4camp9resources2v18PlatformE8ENS_6policy9workgroup31indirect_function_call_dispatchENS6_3hip8hip_workILm1024ELb1EEEJEE15s_device_invokeINS0_29HoldHipDeviceXThreadblockLoopINS_17TypedRangeSegmentIllEEN8rajaperf4comm9HALO_base6PackerElJEEEEEvNS0_29DispatcherVoidConstPtrWrapperISB_EE.has_indirect_call, 0
	.section	.AMDGPU.csdata,"",@progbits
; Function info:
; codeLenInByte = 364
; TotalNumSgprs: 34
; NumVgprs: 32
; ScratchSize: 0
; MemoryBound: 0
	.section	.text._ZN4RAJA6detail28hip_unordered_y_block_globalILm1024ENS0_22random_access_iteratorINS0_11WorkStorageINS_6policy9workgroup32constant_stride_array_of_objectsEN8rajaperf23RAJAPoolAllocatorHolderINS_13basic_mempool7MemPoolINS_3hip15PinnedAllocatorEEEE9AllocatorIcEENS0_10DispatcherILN4camp9resources2v18PlatformE8ENS5_31indirect_function_call_dispatchENS4_3hip8hip_workILm1024ELb1EEEJEEEE19const_iterator_baseEEENS0_10WorkStructILm16ESQ_EElJEEEvT0_DpT3_,"axG",@progbits,_ZN4RAJA6detail28hip_unordered_y_block_globalILm1024ENS0_22random_access_iteratorINS0_11WorkStorageINS_6policy9workgroup32constant_stride_array_of_objectsEN8rajaperf23RAJAPoolAllocatorHolderINS_13basic_mempool7MemPoolINS_3hip15PinnedAllocatorEEEE9AllocatorIcEENS0_10DispatcherILN4camp9resources2v18PlatformE8ENS5_31indirect_function_call_dispatchENS4_3hip8hip_workILm1024ELb1EEEJEEEE19const_iterator_baseEEENS0_10WorkStructILm16ESQ_EElJEEEvT0_DpT3_,comdat
	.protected	_ZN4RAJA6detail28hip_unordered_y_block_globalILm1024ENS0_22random_access_iteratorINS0_11WorkStorageINS_6policy9workgroup32constant_stride_array_of_objectsEN8rajaperf23RAJAPoolAllocatorHolderINS_13basic_mempool7MemPoolINS_3hip15PinnedAllocatorEEEE9AllocatorIcEENS0_10DispatcherILN4camp9resources2v18PlatformE8ENS5_31indirect_function_call_dispatchENS4_3hip8hip_workILm1024ELb1EEEJEEEE19const_iterator_baseEEENS0_10WorkStructILm16ESQ_EElJEEEvT0_DpT3_ ; -- Begin function _ZN4RAJA6detail28hip_unordered_y_block_globalILm1024ENS0_22random_access_iteratorINS0_11WorkStorageINS_6policy9workgroup32constant_stride_array_of_objectsEN8rajaperf23RAJAPoolAllocatorHolderINS_13basic_mempool7MemPoolINS_3hip15PinnedAllocatorEEEE9AllocatorIcEENS0_10DispatcherILN4camp9resources2v18PlatformE8ENS5_31indirect_function_call_dispatchENS4_3hip8hip_workILm1024ELb1EEEJEEEE19const_iterator_baseEEENS0_10WorkStructILm16ESQ_EElJEEEvT0_DpT3_
	.globl	_ZN4RAJA6detail28hip_unordered_y_block_globalILm1024ENS0_22random_access_iteratorINS0_11WorkStorageINS_6policy9workgroup32constant_stride_array_of_objectsEN8rajaperf23RAJAPoolAllocatorHolderINS_13basic_mempool7MemPoolINS_3hip15PinnedAllocatorEEEE9AllocatorIcEENS0_10DispatcherILN4camp9resources2v18PlatformE8ENS5_31indirect_function_call_dispatchENS4_3hip8hip_workILm1024ELb1EEEJEEEE19const_iterator_baseEEENS0_10WorkStructILm16ESQ_EElJEEEvT0_DpT3_
	.p2align	8
	.type	_ZN4RAJA6detail28hip_unordered_y_block_globalILm1024ENS0_22random_access_iteratorINS0_11WorkStorageINS_6policy9workgroup32constant_stride_array_of_objectsEN8rajaperf23RAJAPoolAllocatorHolderINS_13basic_mempool7MemPoolINS_3hip15PinnedAllocatorEEEE9AllocatorIcEENS0_10DispatcherILN4camp9resources2v18PlatformE8ENS5_31indirect_function_call_dispatchENS4_3hip8hip_workILm1024ELb1EEEJEEEE19const_iterator_baseEEENS0_10WorkStructILm16ESQ_EElJEEEvT0_DpT3_,@function
_ZN4RAJA6detail28hip_unordered_y_block_globalILm1024ENS0_22random_access_iteratorINS0_11WorkStorageINS_6policy9workgroup32constant_stride_array_of_objectsEN8rajaperf23RAJAPoolAllocatorHolderINS_13basic_mempool7MemPoolINS_3hip15PinnedAllocatorEEEE9AllocatorIcEENS0_10DispatcherILN4camp9resources2v18PlatformE8ENS5_31indirect_function_call_dispatchENS4_3hip8hip_workILm1024ELb1EEEJEEEE19const_iterator_baseEEENS0_10WorkStructILm16ESQ_EElJEEEvT0_DpT3_: ; @_ZN4RAJA6detail28hip_unordered_y_block_globalILm1024ENS0_22random_access_iteratorINS0_11WorkStorageINS_6policy9workgroup32constant_stride_array_of_objectsEN8rajaperf23RAJAPoolAllocatorHolderINS_13basic_mempool7MemPoolINS_3hip15PinnedAllocatorEEEE9AllocatorIcEENS0_10DispatcherILN4camp9resources2v18PlatformE8ENS5_31indirect_function_call_dispatchENS4_3hip8hip_workILm1024ELb1EEEJEEEE19const_iterator_baseEEENS0_10WorkStructILm16ESQ_EElJEEEvT0_DpT3_
; %bb.0:
	s_load_b128 s[12:15], s[4:5], 0x0
	s_mov_b64 s[10:11], s[6:7]
	s_bfe_u32 s6, ttmp6, 0x40010
	s_and_b32 s8, ttmp7, 0xffff
	s_add_co_i32 s6, s6, 1
	s_bfe_u32 s7, ttmp6, 0x40004
	s_mul_i32 s6, s8, s6
	s_getreg_b32 s9, hwreg(HW_REG_IB_STS2, 6, 4)
	s_add_co_i32 s6, s7, s6
	s_cmp_eq_u32 s9, 0
	s_mov_b32 s7, 0
	s_cselect_b32 s6, s8, s6
	s_add_nc_u64 s[8:9], s[4:5], 16
	s_wait_xcnt 0x0
	s_mov_b64 s[4:5], s[0:1]
	s_mov_b32 s32, 0
	s_wait_kmcnt 0x0
	s_mul_u64 s[6:7], s[14:15], s[6:7]
	s_delay_alu instid0(SALU_CYCLE_1) | instskip(SKIP_3) | instid1(SALU_CYCLE_1)
	s_add_nc_u64 s[6:7], s[12:13], s[6:7]
	s_load_b64 s[12:13], s[6:7], 0x8
	s_wait_xcnt 0x0
	s_add_nc_u64 s[6:7], s[6:7], 16
	v_dual_mov_b32 v31, v0 :: v_dual_mov_b32 v0, s6
	v_mov_b32_e32 v1, s7
	s_mov_b64 s[6:7], s[2:3]
	s_wait_kmcnt 0x0
	s_swap_pc_i64 s[30:31], s[12:13]
	s_endpgm
	.section	.rodata,"a",@progbits
	.p2align	6, 0x0
	.amdhsa_kernel _ZN4RAJA6detail28hip_unordered_y_block_globalILm1024ENS0_22random_access_iteratorINS0_11WorkStorageINS_6policy9workgroup32constant_stride_array_of_objectsEN8rajaperf23RAJAPoolAllocatorHolderINS_13basic_mempool7MemPoolINS_3hip15PinnedAllocatorEEEE9AllocatorIcEENS0_10DispatcherILN4camp9resources2v18PlatformE8ENS5_31indirect_function_call_dispatchENS4_3hip8hip_workILm1024ELb1EEEJEEEE19const_iterator_baseEEENS0_10WorkStructILm16ESQ_EElJEEEvT0_DpT3_
		.amdhsa_group_segment_fixed_size 0
		.amdhsa_private_segment_fixed_size 0
		.amdhsa_kernarg_size 272
		.amdhsa_user_sgpr_count 8
		.amdhsa_user_sgpr_dispatch_ptr 1
		.amdhsa_user_sgpr_queue_ptr 1
		.amdhsa_user_sgpr_kernarg_segment_ptr 1
		.amdhsa_user_sgpr_dispatch_id 1
		.amdhsa_user_sgpr_kernarg_preload_length 0
		.amdhsa_user_sgpr_kernarg_preload_offset 0
		.amdhsa_user_sgpr_private_segment_size 0
		.amdhsa_wavefront_size32 1
		.amdhsa_uses_dynamic_stack 1
		.amdhsa_enable_private_segment 1
		.amdhsa_system_sgpr_workgroup_id_x 1
		.amdhsa_system_sgpr_workgroup_id_y 1
		.amdhsa_system_sgpr_workgroup_id_z 1
		.amdhsa_system_sgpr_workgroup_info 0
		.amdhsa_system_vgpr_workitem_id 2
		.amdhsa_next_free_vgpr max(totalnumvgprs(_ZN4RAJA6detail28hip_unordered_y_block_globalILm1024ENS0_22random_access_iteratorINS0_11WorkStorageINS_6policy9workgroup32constant_stride_array_of_objectsEN8rajaperf23RAJAPoolAllocatorHolderINS_13basic_mempool7MemPoolINS_3hip15PinnedAllocatorEEEE9AllocatorIcEENS0_10DispatcherILN4camp9resources2v18PlatformE8ENS5_31indirect_function_call_dispatchENS4_3hip8hip_workILm1024ELb1EEEJEEEE19const_iterator_baseEEENS0_10WorkStructILm16ESQ_EElJEEEvT0_DpT3_.num_agpr, _ZN4RAJA6detail28hip_unordered_y_block_globalILm1024ENS0_22random_access_iteratorINS0_11WorkStorageINS_6policy9workgroup32constant_stride_array_of_objectsEN8rajaperf23RAJAPoolAllocatorHolderINS_13basic_mempool7MemPoolINS_3hip15PinnedAllocatorEEEE9AllocatorIcEENS0_10DispatcherILN4camp9resources2v18PlatformE8ENS5_31indirect_function_call_dispatchENS4_3hip8hip_workILm1024ELb1EEEJEEEE19const_iterator_baseEEENS0_10WorkStructILm16ESQ_EElJEEEvT0_DpT3_.num_vgpr), 1, 0)
		.amdhsa_next_free_sgpr max(_ZN4RAJA6detail28hip_unordered_y_block_globalILm1024ENS0_22random_access_iteratorINS0_11WorkStorageINS_6policy9workgroup32constant_stride_array_of_objectsEN8rajaperf23RAJAPoolAllocatorHolderINS_13basic_mempool7MemPoolINS_3hip15PinnedAllocatorEEEE9AllocatorIcEENS0_10DispatcherILN4camp9resources2v18PlatformE8ENS5_31indirect_function_call_dispatchENS4_3hip8hip_workILm1024ELb1EEEJEEEE19const_iterator_baseEEENS0_10WorkStructILm16ESQ_EElJEEEvT0_DpT3_.numbered_sgpr+2, 1, 0)-2
		.amdhsa_named_barrier_count (((((alignto(_ZN4RAJA6detail28hip_unordered_y_block_globalILm1024ENS0_22random_access_iteratorINS0_11WorkStorageINS_6policy9workgroup32constant_stride_array_of_objectsEN8rajaperf23RAJAPoolAllocatorHolderINS_13basic_mempool7MemPoolINS_3hip15PinnedAllocatorEEEE9AllocatorIcEENS0_10DispatcherILN4camp9resources2v18PlatformE8ENS5_31indirect_function_call_dispatchENS4_3hip8hip_workILm1024ELb1EEEJEEEE19const_iterator_baseEEENS0_10WorkStructILm16ESQ_EElJEEEvT0_DpT3_.num_named_barrier, 4)/4)<<14)&~4080)|32)&114688)>>14
		.amdhsa_reserve_vcc 1
		.amdhsa_float_round_mode_32 0
		.amdhsa_float_round_mode_16_64 0
		.amdhsa_float_denorm_mode_32 3
		.amdhsa_float_denorm_mode_16_64 3
		.amdhsa_fp16_overflow 0
		.amdhsa_memory_ordered 1
		.amdhsa_forward_progress 1
		.amdhsa_inst_pref_size 2
		.amdhsa_round_robin_scheduling 0
		.amdhsa_exception_fp_ieee_invalid_op 0
		.amdhsa_exception_fp_denorm_src 0
		.amdhsa_exception_fp_ieee_div_zero 0
		.amdhsa_exception_fp_ieee_overflow 0
		.amdhsa_exception_fp_ieee_underflow 0
		.amdhsa_exception_fp_ieee_inexact 0
		.amdhsa_exception_int_div_zero 0
	.end_amdhsa_kernel
	.section	.text._ZN4RAJA6detail28hip_unordered_y_block_globalILm1024ENS0_22random_access_iteratorINS0_11WorkStorageINS_6policy9workgroup32constant_stride_array_of_objectsEN8rajaperf23RAJAPoolAllocatorHolderINS_13basic_mempool7MemPoolINS_3hip15PinnedAllocatorEEEE9AllocatorIcEENS0_10DispatcherILN4camp9resources2v18PlatformE8ENS5_31indirect_function_call_dispatchENS4_3hip8hip_workILm1024ELb1EEEJEEEE19const_iterator_baseEEENS0_10WorkStructILm16ESQ_EElJEEEvT0_DpT3_,"axG",@progbits,_ZN4RAJA6detail28hip_unordered_y_block_globalILm1024ENS0_22random_access_iteratorINS0_11WorkStorageINS_6policy9workgroup32constant_stride_array_of_objectsEN8rajaperf23RAJAPoolAllocatorHolderINS_13basic_mempool7MemPoolINS_3hip15PinnedAllocatorEEEE9AllocatorIcEENS0_10DispatcherILN4camp9resources2v18PlatformE8ENS5_31indirect_function_call_dispatchENS4_3hip8hip_workILm1024ELb1EEEJEEEE19const_iterator_baseEEENS0_10WorkStructILm16ESQ_EElJEEEvT0_DpT3_,comdat
.Lfunc_end5:
	.size	_ZN4RAJA6detail28hip_unordered_y_block_globalILm1024ENS0_22random_access_iteratorINS0_11WorkStorageINS_6policy9workgroup32constant_stride_array_of_objectsEN8rajaperf23RAJAPoolAllocatorHolderINS_13basic_mempool7MemPoolINS_3hip15PinnedAllocatorEEEE9AllocatorIcEENS0_10DispatcherILN4camp9resources2v18PlatformE8ENS5_31indirect_function_call_dispatchENS4_3hip8hip_workILm1024ELb1EEEJEEEE19const_iterator_baseEEENS0_10WorkStructILm16ESQ_EElJEEEvT0_DpT3_, .Lfunc_end5-_ZN4RAJA6detail28hip_unordered_y_block_globalILm1024ENS0_22random_access_iteratorINS0_11WorkStorageINS_6policy9workgroup32constant_stride_array_of_objectsEN8rajaperf23RAJAPoolAllocatorHolderINS_13basic_mempool7MemPoolINS_3hip15PinnedAllocatorEEEE9AllocatorIcEENS0_10DispatcherILN4camp9resources2v18PlatformE8ENS5_31indirect_function_call_dispatchENS4_3hip8hip_workILm1024ELb1EEEJEEEE19const_iterator_baseEEENS0_10WorkStructILm16ESQ_EElJEEEvT0_DpT3_
                                        ; -- End function
	.set _ZN4RAJA6detail28hip_unordered_y_block_globalILm1024ENS0_22random_access_iteratorINS0_11WorkStorageINS_6policy9workgroup32constant_stride_array_of_objectsEN8rajaperf23RAJAPoolAllocatorHolderINS_13basic_mempool7MemPoolINS_3hip15PinnedAllocatorEEEE9AllocatorIcEENS0_10DispatcherILN4camp9resources2v18PlatformE8ENS5_31indirect_function_call_dispatchENS4_3hip8hip_workILm1024ELb1EEEJEEEE19const_iterator_baseEEENS0_10WorkStructILm16ESQ_EElJEEEvT0_DpT3_.num_vgpr, max(32, amdgpu.max_num_vgpr)
	.set _ZN4RAJA6detail28hip_unordered_y_block_globalILm1024ENS0_22random_access_iteratorINS0_11WorkStorageINS_6policy9workgroup32constant_stride_array_of_objectsEN8rajaperf23RAJAPoolAllocatorHolderINS_13basic_mempool7MemPoolINS_3hip15PinnedAllocatorEEEE9AllocatorIcEENS0_10DispatcherILN4camp9resources2v18PlatformE8ENS5_31indirect_function_call_dispatchENS4_3hip8hip_workILm1024ELb1EEEJEEEE19const_iterator_baseEEENS0_10WorkStructILm16ESQ_EElJEEEvT0_DpT3_.num_agpr, max(0, amdgpu.max_num_agpr)
	.set _ZN4RAJA6detail28hip_unordered_y_block_globalILm1024ENS0_22random_access_iteratorINS0_11WorkStorageINS_6policy9workgroup32constant_stride_array_of_objectsEN8rajaperf23RAJAPoolAllocatorHolderINS_13basic_mempool7MemPoolINS_3hip15PinnedAllocatorEEEE9AllocatorIcEENS0_10DispatcherILN4camp9resources2v18PlatformE8ENS5_31indirect_function_call_dispatchENS4_3hip8hip_workILm1024ELb1EEEJEEEE19const_iterator_baseEEENS0_10WorkStructILm16ESQ_EElJEEEvT0_DpT3_.numbered_sgpr, max(33, amdgpu.max_num_sgpr)
	.set _ZN4RAJA6detail28hip_unordered_y_block_globalILm1024ENS0_22random_access_iteratorINS0_11WorkStorageINS_6policy9workgroup32constant_stride_array_of_objectsEN8rajaperf23RAJAPoolAllocatorHolderINS_13basic_mempool7MemPoolINS_3hip15PinnedAllocatorEEEE9AllocatorIcEENS0_10DispatcherILN4camp9resources2v18PlatformE8ENS5_31indirect_function_call_dispatchENS4_3hip8hip_workILm1024ELb1EEEJEEEE19const_iterator_baseEEENS0_10WorkStructILm16ESQ_EElJEEEvT0_DpT3_.num_named_barrier, max(0, amdgpu.max_num_named_barrier)
	.set _ZN4RAJA6detail28hip_unordered_y_block_globalILm1024ENS0_22random_access_iteratorINS0_11WorkStorageINS_6policy9workgroup32constant_stride_array_of_objectsEN8rajaperf23RAJAPoolAllocatorHolderINS_13basic_mempool7MemPoolINS_3hip15PinnedAllocatorEEEE9AllocatorIcEENS0_10DispatcherILN4camp9resources2v18PlatformE8ENS5_31indirect_function_call_dispatchENS4_3hip8hip_workILm1024ELb1EEEJEEEE19const_iterator_baseEEENS0_10WorkStructILm16ESQ_EElJEEEvT0_DpT3_.private_seg_size, 0
	.set _ZN4RAJA6detail28hip_unordered_y_block_globalILm1024ENS0_22random_access_iteratorINS0_11WorkStorageINS_6policy9workgroup32constant_stride_array_of_objectsEN8rajaperf23RAJAPoolAllocatorHolderINS_13basic_mempool7MemPoolINS_3hip15PinnedAllocatorEEEE9AllocatorIcEENS0_10DispatcherILN4camp9resources2v18PlatformE8ENS5_31indirect_function_call_dispatchENS4_3hip8hip_workILm1024ELb1EEEJEEEE19const_iterator_baseEEENS0_10WorkStructILm16ESQ_EElJEEEvT0_DpT3_.uses_vcc, 1
	.set _ZN4RAJA6detail28hip_unordered_y_block_globalILm1024ENS0_22random_access_iteratorINS0_11WorkStorageINS_6policy9workgroup32constant_stride_array_of_objectsEN8rajaperf23RAJAPoolAllocatorHolderINS_13basic_mempool7MemPoolINS_3hip15PinnedAllocatorEEEE9AllocatorIcEENS0_10DispatcherILN4camp9resources2v18PlatformE8ENS5_31indirect_function_call_dispatchENS4_3hip8hip_workILm1024ELb1EEEJEEEE19const_iterator_baseEEENS0_10WorkStructILm16ESQ_EElJEEEvT0_DpT3_.uses_flat_scratch, 1
	.set _ZN4RAJA6detail28hip_unordered_y_block_globalILm1024ENS0_22random_access_iteratorINS0_11WorkStorageINS_6policy9workgroup32constant_stride_array_of_objectsEN8rajaperf23RAJAPoolAllocatorHolderINS_13basic_mempool7MemPoolINS_3hip15PinnedAllocatorEEEE9AllocatorIcEENS0_10DispatcherILN4camp9resources2v18PlatformE8ENS5_31indirect_function_call_dispatchENS4_3hip8hip_workILm1024ELb1EEEJEEEE19const_iterator_baseEEENS0_10WorkStructILm16ESQ_EElJEEEvT0_DpT3_.has_dyn_sized_stack, 1
	.set _ZN4RAJA6detail28hip_unordered_y_block_globalILm1024ENS0_22random_access_iteratorINS0_11WorkStorageINS_6policy9workgroup32constant_stride_array_of_objectsEN8rajaperf23RAJAPoolAllocatorHolderINS_13basic_mempool7MemPoolINS_3hip15PinnedAllocatorEEEE9AllocatorIcEENS0_10DispatcherILN4camp9resources2v18PlatformE8ENS5_31indirect_function_call_dispatchENS4_3hip8hip_workILm1024ELb1EEEJEEEE19const_iterator_baseEEENS0_10WorkStructILm16ESQ_EElJEEEvT0_DpT3_.has_recursion, 1
	.set _ZN4RAJA6detail28hip_unordered_y_block_globalILm1024ENS0_22random_access_iteratorINS0_11WorkStorageINS_6policy9workgroup32constant_stride_array_of_objectsEN8rajaperf23RAJAPoolAllocatorHolderINS_13basic_mempool7MemPoolINS_3hip15PinnedAllocatorEEEE9AllocatorIcEENS0_10DispatcherILN4camp9resources2v18PlatformE8ENS5_31indirect_function_call_dispatchENS4_3hip8hip_workILm1024ELb1EEEJEEEE19const_iterator_baseEEENS0_10WorkStructILm16ESQ_EElJEEEvT0_DpT3_.has_indirect_call, 1
	.section	.AMDGPU.csdata,"",@progbits
; Kernel info:
; codeLenInByte = 140
; TotalNumSgprs: _ZN4RAJA6detail28hip_unordered_y_block_globalILm1024ENS0_22random_access_iteratorINS0_11WorkStorageINS_6policy9workgroup32constant_stride_array_of_objectsEN8rajaperf23RAJAPoolAllocatorHolderINS_13basic_mempool7MemPoolINS_3hip15PinnedAllocatorEEEE9AllocatorIcEENS0_10DispatcherILN4camp9resources2v18PlatformE8ENS5_31indirect_function_call_dispatchENS4_3hip8hip_workILm1024ELb1EEEJEEEE19const_iterator_baseEEENS0_10WorkStructILm16ESQ_EElJEEEvT0_DpT3_.numbered_sgpr+2
; NumVgprs: _ZN4RAJA6detail28hip_unordered_y_block_globalILm1024ENS0_22random_access_iteratorINS0_11WorkStorageINS_6policy9workgroup32constant_stride_array_of_objectsEN8rajaperf23RAJAPoolAllocatorHolderINS_13basic_mempool7MemPoolINS_3hip15PinnedAllocatorEEEE9AllocatorIcEENS0_10DispatcherILN4camp9resources2v18PlatformE8ENS5_31indirect_function_call_dispatchENS4_3hip8hip_workILm1024ELb1EEEJEEEE19const_iterator_baseEEENS0_10WorkStructILm16ESQ_EElJEEEvT0_DpT3_.num_vgpr
; ScratchSize: 0
; MemoryBound: 0
; FloatMode: 240
; IeeeMode: 1
; LDSByteSize: 0 bytes/workgroup (compile time only)
; SGPRBlocks: 0
; VGPRBlocks: (alignto(max(max(totalnumvgprs(_ZN4RAJA6detail28hip_unordered_y_block_globalILm1024ENS0_22random_access_iteratorINS0_11WorkStorageINS_6policy9workgroup32constant_stride_array_of_objectsEN8rajaperf23RAJAPoolAllocatorHolderINS_13basic_mempool7MemPoolINS_3hip15PinnedAllocatorEEEE9AllocatorIcEENS0_10DispatcherILN4camp9resources2v18PlatformE8ENS5_31indirect_function_call_dispatchENS4_3hip8hip_workILm1024ELb1EEEJEEEE19const_iterator_baseEEENS0_10WorkStructILm16ESQ_EElJEEEvT0_DpT3_.num_agpr, _ZN4RAJA6detail28hip_unordered_y_block_globalILm1024ENS0_22random_access_iteratorINS0_11WorkStorageINS_6policy9workgroup32constant_stride_array_of_objectsEN8rajaperf23RAJAPoolAllocatorHolderINS_13basic_mempool7MemPoolINS_3hip15PinnedAllocatorEEEE9AllocatorIcEENS0_10DispatcherILN4camp9resources2v18PlatformE8ENS5_31indirect_function_call_dispatchENS4_3hip8hip_workILm1024ELb1EEEJEEEE19const_iterator_baseEEENS0_10WorkStructILm16ESQ_EElJEEEvT0_DpT3_.num_vgpr), 1, 0), 1), 16)/16)-1
; NumSGPRsForWavesPerEU: max(_ZN4RAJA6detail28hip_unordered_y_block_globalILm1024ENS0_22random_access_iteratorINS0_11WorkStorageINS_6policy9workgroup32constant_stride_array_of_objectsEN8rajaperf23RAJAPoolAllocatorHolderINS_13basic_mempool7MemPoolINS_3hip15PinnedAllocatorEEEE9AllocatorIcEENS0_10DispatcherILN4camp9resources2v18PlatformE8ENS5_31indirect_function_call_dispatchENS4_3hip8hip_workILm1024ELb1EEEJEEEE19const_iterator_baseEEENS0_10WorkStructILm16ESQ_EElJEEEvT0_DpT3_.numbered_sgpr+2, 1, 0)
; NumVGPRsForWavesPerEU: max(totalnumvgprs(_ZN4RAJA6detail28hip_unordered_y_block_globalILm1024ENS0_22random_access_iteratorINS0_11WorkStorageINS_6policy9workgroup32constant_stride_array_of_objectsEN8rajaperf23RAJAPoolAllocatorHolderINS_13basic_mempool7MemPoolINS_3hip15PinnedAllocatorEEEE9AllocatorIcEENS0_10DispatcherILN4camp9resources2v18PlatformE8ENS5_31indirect_function_call_dispatchENS4_3hip8hip_workILm1024ELb1EEEJEEEE19const_iterator_baseEEENS0_10WorkStructILm16ESQ_EElJEEEvT0_DpT3_.num_agpr, _ZN4RAJA6detail28hip_unordered_y_block_globalILm1024ENS0_22random_access_iteratorINS0_11WorkStorageINS_6policy9workgroup32constant_stride_array_of_objectsEN8rajaperf23RAJAPoolAllocatorHolderINS_13basic_mempool7MemPoolINS_3hip15PinnedAllocatorEEEE9AllocatorIcEENS0_10DispatcherILN4camp9resources2v18PlatformE8ENS5_31indirect_function_call_dispatchENS4_3hip8hip_workILm1024ELb1EEEJEEEE19const_iterator_baseEEENS0_10WorkStructILm16ESQ_EElJEEEvT0_DpT3_.num_vgpr), 1, 0)
; NamedBarCnt: alignto(_ZN4RAJA6detail28hip_unordered_y_block_globalILm1024ENS0_22random_access_iteratorINS0_11WorkStorageINS_6policy9workgroup32constant_stride_array_of_objectsEN8rajaperf23RAJAPoolAllocatorHolderINS_13basic_mempool7MemPoolINS_3hip15PinnedAllocatorEEEE9AllocatorIcEENS0_10DispatcherILN4camp9resources2v18PlatformE8ENS5_31indirect_function_call_dispatchENS4_3hip8hip_workILm1024ELb1EEEJEEEE19const_iterator_baseEEENS0_10WorkStructILm16ESQ_EElJEEEvT0_DpT3_.num_named_barrier, 4)/4
; Occupancy: occupancy(16, 16, 1024, 11, 16, max(_ZN4RAJA6detail28hip_unordered_y_block_globalILm1024ENS0_22random_access_iteratorINS0_11WorkStorageINS_6policy9workgroup32constant_stride_array_of_objectsEN8rajaperf23RAJAPoolAllocatorHolderINS_13basic_mempool7MemPoolINS_3hip15PinnedAllocatorEEEE9AllocatorIcEENS0_10DispatcherILN4camp9resources2v18PlatformE8ENS5_31indirect_function_call_dispatchENS4_3hip8hip_workILm1024ELb1EEEJEEEE19const_iterator_baseEEENS0_10WorkStructILm16ESQ_EElJEEEvT0_DpT3_.numbered_sgpr+extrasgprs(_ZN4RAJA6detail28hip_unordered_y_block_globalILm1024ENS0_22random_access_iteratorINS0_11WorkStorageINS_6policy9workgroup32constant_stride_array_of_objectsEN8rajaperf23RAJAPoolAllocatorHolderINS_13basic_mempool7MemPoolINS_3hip15PinnedAllocatorEEEE9AllocatorIcEENS0_10DispatcherILN4camp9resources2v18PlatformE8ENS5_31indirect_function_call_dispatchENS4_3hip8hip_workILm1024ELb1EEEJEEEE19const_iterator_baseEEENS0_10WorkStructILm16ESQ_EElJEEEvT0_DpT3_.uses_vcc, _ZN4RAJA6detail28hip_unordered_y_block_globalILm1024ENS0_22random_access_iteratorINS0_11WorkStorageINS_6policy9workgroup32constant_stride_array_of_objectsEN8rajaperf23RAJAPoolAllocatorHolderINS_13basic_mempool7MemPoolINS_3hip15PinnedAllocatorEEEE9AllocatorIcEENS0_10DispatcherILN4camp9resources2v18PlatformE8ENS5_31indirect_function_call_dispatchENS4_3hip8hip_workILm1024ELb1EEEJEEEE19const_iterator_baseEEENS0_10WorkStructILm16ESQ_EElJEEEvT0_DpT3_.uses_flat_scratch, 1), 1, 0), max(totalnumvgprs(_ZN4RAJA6detail28hip_unordered_y_block_globalILm1024ENS0_22random_access_iteratorINS0_11WorkStorageINS_6policy9workgroup32constant_stride_array_of_objectsEN8rajaperf23RAJAPoolAllocatorHolderINS_13basic_mempool7MemPoolINS_3hip15PinnedAllocatorEEEE9AllocatorIcEENS0_10DispatcherILN4camp9resources2v18PlatformE8ENS5_31indirect_function_call_dispatchENS4_3hip8hip_workILm1024ELb1EEEJEEEE19const_iterator_baseEEENS0_10WorkStructILm16ESQ_EElJEEEvT0_DpT3_.num_agpr, _ZN4RAJA6detail28hip_unordered_y_block_globalILm1024ENS0_22random_access_iteratorINS0_11WorkStorageINS_6policy9workgroup32constant_stride_array_of_objectsEN8rajaperf23RAJAPoolAllocatorHolderINS_13basic_mempool7MemPoolINS_3hip15PinnedAllocatorEEEE9AllocatorIcEENS0_10DispatcherILN4camp9resources2v18PlatformE8ENS5_31indirect_function_call_dispatchENS4_3hip8hip_workILm1024ELb1EEEJEEEE19const_iterator_baseEEENS0_10WorkStructILm16ESQ_EElJEEEvT0_DpT3_.num_vgpr), 1, 0))
; WaveLimiterHint : 0
; COMPUTE_PGM_RSRC2:SCRATCH_EN: 1
; COMPUTE_PGM_RSRC2:USER_SGPR: 8
; COMPUTE_PGM_RSRC2:TRAP_HANDLER: 0
; COMPUTE_PGM_RSRC2:TGID_X_EN: 1
; COMPUTE_PGM_RSRC2:TGID_Y_EN: 1
; COMPUTE_PGM_RSRC2:TGID_Z_EN: 1
; COMPUTE_PGM_RSRC2:TIDIG_COMP_CNT: 2
	.section	.text._ZN4RAJA6detail3hip16get_value_globalINS0_10DispatcherILN4camp9resources2v18PlatformE8ENS_6policy9workgroup31indirect_function_call_dispatchENS8_3hip8hip_workILm1024ELb1EEEJEE20DeviceInvokerFactoryINS0_29HoldHipDeviceXThreadblockLoopINS_17TypedRangeSegmentIllEEN8rajaperf4comm9HALO_base8UnPackerElJEEEEEEEvPNT_10value_typeESP_,"axG",@progbits,_ZN4RAJA6detail3hip16get_value_globalINS0_10DispatcherILN4camp9resources2v18PlatformE8ENS_6policy9workgroup31indirect_function_call_dispatchENS8_3hip8hip_workILm1024ELb1EEEJEE20DeviceInvokerFactoryINS0_29HoldHipDeviceXThreadblockLoopINS_17TypedRangeSegmentIllEEN8rajaperf4comm9HALO_base8UnPackerElJEEEEEEEvPNT_10value_typeESP_,comdat
	.protected	_ZN4RAJA6detail3hip16get_value_globalINS0_10DispatcherILN4camp9resources2v18PlatformE8ENS_6policy9workgroup31indirect_function_call_dispatchENS8_3hip8hip_workILm1024ELb1EEEJEE20DeviceInvokerFactoryINS0_29HoldHipDeviceXThreadblockLoopINS_17TypedRangeSegmentIllEEN8rajaperf4comm9HALO_base8UnPackerElJEEEEEEEvPNT_10value_typeESP_ ; -- Begin function _ZN4RAJA6detail3hip16get_value_globalINS0_10DispatcherILN4camp9resources2v18PlatformE8ENS_6policy9workgroup31indirect_function_call_dispatchENS8_3hip8hip_workILm1024ELb1EEEJEE20DeviceInvokerFactoryINS0_29HoldHipDeviceXThreadblockLoopINS_17TypedRangeSegmentIllEEN8rajaperf4comm9HALO_base8UnPackerElJEEEEEEEvPNT_10value_typeESP_
	.globl	_ZN4RAJA6detail3hip16get_value_globalINS0_10DispatcherILN4camp9resources2v18PlatformE8ENS_6policy9workgroup31indirect_function_call_dispatchENS8_3hip8hip_workILm1024ELb1EEEJEE20DeviceInvokerFactoryINS0_29HoldHipDeviceXThreadblockLoopINS_17TypedRangeSegmentIllEEN8rajaperf4comm9HALO_base8UnPackerElJEEEEEEEvPNT_10value_typeESP_
	.p2align	8
	.type	_ZN4RAJA6detail3hip16get_value_globalINS0_10DispatcherILN4camp9resources2v18PlatformE8ENS_6policy9workgroup31indirect_function_call_dispatchENS8_3hip8hip_workILm1024ELb1EEEJEE20DeviceInvokerFactoryINS0_29HoldHipDeviceXThreadblockLoopINS_17TypedRangeSegmentIllEEN8rajaperf4comm9HALO_base8UnPackerElJEEEEEEEvPNT_10value_typeESP_,@function
_ZN4RAJA6detail3hip16get_value_globalINS0_10DispatcherILN4camp9resources2v18PlatformE8ENS_6policy9workgroup31indirect_function_call_dispatchENS8_3hip8hip_workILm1024ELb1EEEJEE20DeviceInvokerFactoryINS0_29HoldHipDeviceXThreadblockLoopINS_17TypedRangeSegmentIllEEN8rajaperf4comm9HALO_base8UnPackerElJEEEEEEEvPNT_10value_typeESP_: ; @_ZN4RAJA6detail3hip16get_value_globalINS0_10DispatcherILN4camp9resources2v18PlatformE8ENS_6policy9workgroup31indirect_function_call_dispatchENS8_3hip8hip_workILm1024ELb1EEEJEE20DeviceInvokerFactoryINS0_29HoldHipDeviceXThreadblockLoopINS_17TypedRangeSegmentIllEEN8rajaperf4comm9HALO_base8UnPackerElJEEEEEEEvPNT_10value_typeESP_
; %bb.0:
	s_load_b64 s[0:1], s[0:1], 0x0
	s_get_pc_i64 s[2:3]
	s_add_nc_u64 s[2:3], s[2:3], _ZN4RAJA6detail10DispatcherILN4camp9resources2v18PlatformE8ENS_6policy9workgroup31indirect_function_call_dispatchENS6_3hip8hip_workILm1024ELb1EEEJEE15s_device_invokeINS0_29HoldHipDeviceXThreadblockLoopINS_17TypedRangeSegmentIllEEN8rajaperf4comm9HALO_base8UnPackerElJEEEEEvNS0_29DispatcherVoidConstPtrWrapperISB_EE@rel64+4
	v_mov_b32_e32 v2, 0
	v_mov_b64_e32 v[0:1], s[2:3]
	s_wait_kmcnt 0x0
	global_store_b64 v2, v[0:1], s[0:1]
	s_endpgm
	.section	.rodata,"a",@progbits
	.p2align	6, 0x0
	.amdhsa_kernel _ZN4RAJA6detail3hip16get_value_globalINS0_10DispatcherILN4camp9resources2v18PlatformE8ENS_6policy9workgroup31indirect_function_call_dispatchENS8_3hip8hip_workILm1024ELb1EEEJEE20DeviceInvokerFactoryINS0_29HoldHipDeviceXThreadblockLoopINS_17TypedRangeSegmentIllEEN8rajaperf4comm9HALO_base8UnPackerElJEEEEEEEvPNT_10value_typeESP_
		.amdhsa_group_segment_fixed_size 0
		.amdhsa_private_segment_fixed_size 0
		.amdhsa_kernarg_size 12
		.amdhsa_user_sgpr_count 2
		.amdhsa_user_sgpr_dispatch_ptr 0
		.amdhsa_user_sgpr_queue_ptr 0
		.amdhsa_user_sgpr_kernarg_segment_ptr 1
		.amdhsa_user_sgpr_dispatch_id 0
		.amdhsa_user_sgpr_kernarg_preload_length 0
		.amdhsa_user_sgpr_kernarg_preload_offset 0
		.amdhsa_user_sgpr_private_segment_size 0
		.amdhsa_wavefront_size32 1
		.amdhsa_uses_dynamic_stack 0
		.amdhsa_enable_private_segment 0
		.amdhsa_system_sgpr_workgroup_id_x 1
		.amdhsa_system_sgpr_workgroup_id_y 0
		.amdhsa_system_sgpr_workgroup_id_z 0
		.amdhsa_system_sgpr_workgroup_info 0
		.amdhsa_system_vgpr_workitem_id 0
		.amdhsa_next_free_vgpr 3
		.amdhsa_next_free_sgpr 4
		.amdhsa_named_barrier_count 0
		.amdhsa_reserve_vcc 0
		.amdhsa_float_round_mode_32 0
		.amdhsa_float_round_mode_16_64 0
		.amdhsa_float_denorm_mode_32 3
		.amdhsa_float_denorm_mode_16_64 3
		.amdhsa_fp16_overflow 0
		.amdhsa_memory_ordered 1
		.amdhsa_forward_progress 1
		.amdhsa_inst_pref_size 1
		.amdhsa_round_robin_scheduling 0
		.amdhsa_exception_fp_ieee_invalid_op 0
		.amdhsa_exception_fp_denorm_src 0
		.amdhsa_exception_fp_ieee_div_zero 0
		.amdhsa_exception_fp_ieee_overflow 0
		.amdhsa_exception_fp_ieee_underflow 0
		.amdhsa_exception_fp_ieee_inexact 0
		.amdhsa_exception_int_div_zero 0
	.end_amdhsa_kernel
	.section	.text._ZN4RAJA6detail3hip16get_value_globalINS0_10DispatcherILN4camp9resources2v18PlatformE8ENS_6policy9workgroup31indirect_function_call_dispatchENS8_3hip8hip_workILm1024ELb1EEEJEE20DeviceInvokerFactoryINS0_29HoldHipDeviceXThreadblockLoopINS_17TypedRangeSegmentIllEEN8rajaperf4comm9HALO_base8UnPackerElJEEEEEEEvPNT_10value_typeESP_,"axG",@progbits,_ZN4RAJA6detail3hip16get_value_globalINS0_10DispatcherILN4camp9resources2v18PlatformE8ENS_6policy9workgroup31indirect_function_call_dispatchENS8_3hip8hip_workILm1024ELb1EEEJEE20DeviceInvokerFactoryINS0_29HoldHipDeviceXThreadblockLoopINS_17TypedRangeSegmentIllEEN8rajaperf4comm9HALO_base8UnPackerElJEEEEEEEvPNT_10value_typeESP_,comdat
.Lfunc_end6:
	.size	_ZN4RAJA6detail3hip16get_value_globalINS0_10DispatcherILN4camp9resources2v18PlatformE8ENS_6policy9workgroup31indirect_function_call_dispatchENS8_3hip8hip_workILm1024ELb1EEEJEE20DeviceInvokerFactoryINS0_29HoldHipDeviceXThreadblockLoopINS_17TypedRangeSegmentIllEEN8rajaperf4comm9HALO_base8UnPackerElJEEEEEEEvPNT_10value_typeESP_, .Lfunc_end6-_ZN4RAJA6detail3hip16get_value_globalINS0_10DispatcherILN4camp9resources2v18PlatformE8ENS_6policy9workgroup31indirect_function_call_dispatchENS8_3hip8hip_workILm1024ELb1EEEJEE20DeviceInvokerFactoryINS0_29HoldHipDeviceXThreadblockLoopINS_17TypedRangeSegmentIllEEN8rajaperf4comm9HALO_base8UnPackerElJEEEEEEEvPNT_10value_typeESP_
                                        ; -- End function
	.set _ZN4RAJA6detail3hip16get_value_globalINS0_10DispatcherILN4camp9resources2v18PlatformE8ENS_6policy9workgroup31indirect_function_call_dispatchENS8_3hip8hip_workILm1024ELb1EEEJEE20DeviceInvokerFactoryINS0_29HoldHipDeviceXThreadblockLoopINS_17TypedRangeSegmentIllEEN8rajaperf4comm9HALO_base8UnPackerElJEEEEEEEvPNT_10value_typeESP_.num_vgpr, 3
	.set _ZN4RAJA6detail3hip16get_value_globalINS0_10DispatcherILN4camp9resources2v18PlatformE8ENS_6policy9workgroup31indirect_function_call_dispatchENS8_3hip8hip_workILm1024ELb1EEEJEE20DeviceInvokerFactoryINS0_29HoldHipDeviceXThreadblockLoopINS_17TypedRangeSegmentIllEEN8rajaperf4comm9HALO_base8UnPackerElJEEEEEEEvPNT_10value_typeESP_.num_agpr, 0
	.set _ZN4RAJA6detail3hip16get_value_globalINS0_10DispatcherILN4camp9resources2v18PlatformE8ENS_6policy9workgroup31indirect_function_call_dispatchENS8_3hip8hip_workILm1024ELb1EEEJEE20DeviceInvokerFactoryINS0_29HoldHipDeviceXThreadblockLoopINS_17TypedRangeSegmentIllEEN8rajaperf4comm9HALO_base8UnPackerElJEEEEEEEvPNT_10value_typeESP_.numbered_sgpr, 4
	.set _ZN4RAJA6detail3hip16get_value_globalINS0_10DispatcherILN4camp9resources2v18PlatformE8ENS_6policy9workgroup31indirect_function_call_dispatchENS8_3hip8hip_workILm1024ELb1EEEJEE20DeviceInvokerFactoryINS0_29HoldHipDeviceXThreadblockLoopINS_17TypedRangeSegmentIllEEN8rajaperf4comm9HALO_base8UnPackerElJEEEEEEEvPNT_10value_typeESP_.num_named_barrier, 0
	.set _ZN4RAJA6detail3hip16get_value_globalINS0_10DispatcherILN4camp9resources2v18PlatformE8ENS_6policy9workgroup31indirect_function_call_dispatchENS8_3hip8hip_workILm1024ELb1EEEJEE20DeviceInvokerFactoryINS0_29HoldHipDeviceXThreadblockLoopINS_17TypedRangeSegmentIllEEN8rajaperf4comm9HALO_base8UnPackerElJEEEEEEEvPNT_10value_typeESP_.private_seg_size, 0
	.set _ZN4RAJA6detail3hip16get_value_globalINS0_10DispatcherILN4camp9resources2v18PlatformE8ENS_6policy9workgroup31indirect_function_call_dispatchENS8_3hip8hip_workILm1024ELb1EEEJEE20DeviceInvokerFactoryINS0_29HoldHipDeviceXThreadblockLoopINS_17TypedRangeSegmentIllEEN8rajaperf4comm9HALO_base8UnPackerElJEEEEEEEvPNT_10value_typeESP_.uses_vcc, 0
	.set _ZN4RAJA6detail3hip16get_value_globalINS0_10DispatcherILN4camp9resources2v18PlatformE8ENS_6policy9workgroup31indirect_function_call_dispatchENS8_3hip8hip_workILm1024ELb1EEEJEE20DeviceInvokerFactoryINS0_29HoldHipDeviceXThreadblockLoopINS_17TypedRangeSegmentIllEEN8rajaperf4comm9HALO_base8UnPackerElJEEEEEEEvPNT_10value_typeESP_.uses_flat_scratch, 0
	.set _ZN4RAJA6detail3hip16get_value_globalINS0_10DispatcherILN4camp9resources2v18PlatformE8ENS_6policy9workgroup31indirect_function_call_dispatchENS8_3hip8hip_workILm1024ELb1EEEJEE20DeviceInvokerFactoryINS0_29HoldHipDeviceXThreadblockLoopINS_17TypedRangeSegmentIllEEN8rajaperf4comm9HALO_base8UnPackerElJEEEEEEEvPNT_10value_typeESP_.has_dyn_sized_stack, 0
	.set _ZN4RAJA6detail3hip16get_value_globalINS0_10DispatcherILN4camp9resources2v18PlatformE8ENS_6policy9workgroup31indirect_function_call_dispatchENS8_3hip8hip_workILm1024ELb1EEEJEE20DeviceInvokerFactoryINS0_29HoldHipDeviceXThreadblockLoopINS_17TypedRangeSegmentIllEEN8rajaperf4comm9HALO_base8UnPackerElJEEEEEEEvPNT_10value_typeESP_.has_recursion, 0
	.set _ZN4RAJA6detail3hip16get_value_globalINS0_10DispatcherILN4camp9resources2v18PlatformE8ENS_6policy9workgroup31indirect_function_call_dispatchENS8_3hip8hip_workILm1024ELb1EEEJEE20DeviceInvokerFactoryINS0_29HoldHipDeviceXThreadblockLoopINS_17TypedRangeSegmentIllEEN8rajaperf4comm9HALO_base8UnPackerElJEEEEEEEvPNT_10value_typeESP_.has_indirect_call, 0
	.section	.AMDGPU.csdata,"",@progbits
; Kernel info:
; codeLenInByte = 52
; TotalNumSgprs: 4
; NumVgprs: 3
; ScratchSize: 0
; MemoryBound: 0
; FloatMode: 240
; IeeeMode: 1
; LDSByteSize: 0 bytes/workgroup (compile time only)
; SGPRBlocks: 0
; VGPRBlocks: 0
; NumSGPRsForWavesPerEU: 4
; NumVGPRsForWavesPerEU: 3
; NamedBarCnt: 0
; Occupancy: 16
; WaveLimiterHint : 0
; COMPUTE_PGM_RSRC2:SCRATCH_EN: 0
; COMPUTE_PGM_RSRC2:USER_SGPR: 2
; COMPUTE_PGM_RSRC2:TRAP_HANDLER: 0
; COMPUTE_PGM_RSRC2:TGID_X_EN: 1
; COMPUTE_PGM_RSRC2:TGID_Y_EN: 0
; COMPUTE_PGM_RSRC2:TGID_Z_EN: 0
; COMPUTE_PGM_RSRC2:TIDIG_COMP_CNT: 0
	.text
	.p2align	2                               ; -- Begin function _ZN4RAJA6detail10DispatcherILN4camp9resources2v18PlatformE8ENS_6policy9workgroup31indirect_function_call_dispatchENS6_3hip8hip_workILm1024ELb1EEEJEE15s_device_invokeINS0_29HoldHipDeviceXThreadblockLoopINS_17TypedRangeSegmentIllEEN8rajaperf4comm9HALO_base8UnPackerElJEEEEEvNS0_29DispatcherVoidConstPtrWrapperISB_EE
	.type	_ZN4RAJA6detail10DispatcherILN4camp9resources2v18PlatformE8ENS_6policy9workgroup31indirect_function_call_dispatchENS6_3hip8hip_workILm1024ELb1EEEJEE15s_device_invokeINS0_29HoldHipDeviceXThreadblockLoopINS_17TypedRangeSegmentIllEEN8rajaperf4comm9HALO_base8UnPackerElJEEEEEvNS0_29DispatcherVoidConstPtrWrapperISB_EE,@function
_ZN4RAJA6detail10DispatcherILN4camp9resources2v18PlatformE8ENS_6policy9workgroup31indirect_function_call_dispatchENS6_3hip8hip_workILm1024ELb1EEEJEE15s_device_invokeINS0_29HoldHipDeviceXThreadblockLoopINS_17TypedRangeSegmentIllEEN8rajaperf4comm9HALO_base8UnPackerElJEEEEEvNS0_29DispatcherVoidConstPtrWrapperISB_EE: ; @_ZN4RAJA6detail10DispatcherILN4camp9resources2v18PlatformE8ENS_6policy9workgroup31indirect_function_call_dispatchENS6_3hip8hip_workILm1024ELb1EEEJEE15s_device_invokeINS0_29HoldHipDeviceXThreadblockLoopINS_17TypedRangeSegmentIllEEN8rajaperf4comm9HALO_base8UnPackerElJEEEEEvNS0_29DispatcherVoidConstPtrWrapperISB_EE
; %bb.0:
	s_wait_loadcnt_dscnt 0x0
	s_wait_kmcnt 0x0
	flat_load_b128 v[2:5], v[0:1]
	s_load_b32 s2, s[8:9], 0x0
	s_bfe_u32 s0, ttmp6, 0x4000c
	s_and_b32 s1, ttmp6, 15
	s_add_co_i32 s0, s0, 1
	s_getreg_b32 s3, hwreg(HW_REG_IB_STS2, 6, 4)
	s_mul_i32 s0, ttmp9, s0
	v_and_b32_e32 v6, 0x3ff, v31
	s_add_co_i32 s1, s1, s0
	s_cmp_eq_u32 s3, 0
	v_mov_b32_e32 v9, 0
	s_cselect_b32 s3, ttmp9, s1
	s_mov_b32 s1, 0
	s_mov_b32 s6, exec_lo
	s_wait_kmcnt 0x0
	s_cmp_lt_u32 s3, s2
	s_cselect_b32 s0, 12, 18
	s_delay_alu instid0(SALU_CYCLE_1)
	s_add_nc_u64 s[4:5], s[8:9], s[0:1]
	s_load_u16 s0, s[4:5], 0x0
	s_wait_kmcnt 0x0
	v_mad_u32 v8, s3, s0, v6
	s_wait_loadcnt_dscnt 0x0
	v_sub_nc_u64_e32 v[10:11], v[4:5], v[2:3]
	s_delay_alu instid0(VALU_DEP_1)
	v_cmpx_gt_i64_e64 v[10:11], v[8:9]
	s_cbranch_execz .LBB7_3
; %bb.1:
	s_clause 0x1
	flat_load_b64 v[12:13], v[0:1] offset:32
	flat_load_b128 v[4:7], v[0:1] offset:16
	s_load_u16 s3, s[8:9], 0x12
	v_add_nc_u64_e32 v[2:3], v[2:3], v[8:9]
	s_mov_b32 s7, s1
	s_wait_kmcnt 0x0
	s_cmp_lg_u32 s3, 0
	s_cselect_b32 s3, -1, 0
	s_delay_alu instid0(SALU_CYCLE_1) | instskip(SKIP_1) | instid1(SALU_CYCLE_1)
	s_cmp_lg_u32 s3, 0
	s_add_co_ci_u32 s2, s2, 0
	s_mul_i32 s0, s2, s0
	s_delay_alu instid0(SALU_CYCLE_1)
	s_lshl_b64 s[2:3], s[0:1], 2
	s_lshl_b64 s[4:5], s[0:1], 3
	s_wait_loadcnt_dscnt 0x101
	v_lshl_add_u64 v[0:1], v[2:3], 2, v[12:13]
	s_wait_loadcnt_dscnt 0x0
	v_lshl_add_u64 v[2:3], v[2:3], 3, v[4:5]
.LBB7_2:                                ; =>This Inner Loop Header: Depth=1
	flat_load_b32 v4, v[0:1]
	flat_load_b64 v[12:13], v[2:3]
	v_add_nc_u64_e32 v[8:9], s[0:1], v[8:9]
	s_wait_xcnt 0x1
	v_add_nc_u64_e32 v[0:1], s[2:3], v[0:1]
	s_wait_xcnt 0x0
	v_add_nc_u64_e32 v[2:3], s[4:5], v[2:3]
	s_delay_alu instid0(VALU_DEP_3) | instskip(SKIP_3) | instid1(VALU_DEP_1)
	v_cmp_ge_i64_e32 vcc_lo, v[8:9], v[10:11]
	s_or_b32 s7, vcc_lo, s7
	s_wait_loadcnt_dscnt 0x101
	v_ashrrev_i32_e32 v5, 31, v4
	v_lshl_add_u64 v[4:5], v[4:5], 3, v[6:7]
	s_wait_loadcnt_dscnt 0x0
	flat_store_b64 v[4:5], v[12:13]
	s_wait_xcnt 0x0
	s_and_not1_b32 exec_lo, exec_lo, s7
	s_cbranch_execnz .LBB7_2
.LBB7_3:
	s_or_b32 exec_lo, exec_lo, s6
	s_wait_dscnt 0x0
	s_set_pc_i64 s[30:31]
.Lfunc_end7:
	.size	_ZN4RAJA6detail10DispatcherILN4camp9resources2v18PlatformE8ENS_6policy9workgroup31indirect_function_call_dispatchENS6_3hip8hip_workILm1024ELb1EEEJEE15s_device_invokeINS0_29HoldHipDeviceXThreadblockLoopINS_17TypedRangeSegmentIllEEN8rajaperf4comm9HALO_base8UnPackerElJEEEEEvNS0_29DispatcherVoidConstPtrWrapperISB_EE, .Lfunc_end7-_ZN4RAJA6detail10DispatcherILN4camp9resources2v18PlatformE8ENS_6policy9workgroup31indirect_function_call_dispatchENS6_3hip8hip_workILm1024ELb1EEEJEE15s_device_invokeINS0_29HoldHipDeviceXThreadblockLoopINS_17TypedRangeSegmentIllEEN8rajaperf4comm9HALO_base8UnPackerElJEEEEEvNS0_29DispatcherVoidConstPtrWrapperISB_EE
                                        ; -- End function
	.set .L_ZN4RAJA6detail10DispatcherILN4camp9resources2v18PlatformE8ENS_6policy9workgroup31indirect_function_call_dispatchENS6_3hip8hip_workILm1024ELb1EEEJEE15s_device_invokeINS0_29HoldHipDeviceXThreadblockLoopINS_17TypedRangeSegmentIllEEN8rajaperf4comm9HALO_base8UnPackerElJEEEEEvNS0_29DispatcherVoidConstPtrWrapperISB_EE.num_vgpr, 32
	.set .L_ZN4RAJA6detail10DispatcherILN4camp9resources2v18PlatformE8ENS_6policy9workgroup31indirect_function_call_dispatchENS6_3hip8hip_workILm1024ELb1EEEJEE15s_device_invokeINS0_29HoldHipDeviceXThreadblockLoopINS_17TypedRangeSegmentIllEEN8rajaperf4comm9HALO_base8UnPackerElJEEEEEvNS0_29DispatcherVoidConstPtrWrapperISB_EE.num_agpr, 0
	.set .L_ZN4RAJA6detail10DispatcherILN4camp9resources2v18PlatformE8ENS_6policy9workgroup31indirect_function_call_dispatchENS6_3hip8hip_workILm1024ELb1EEEJEE15s_device_invokeINS0_29HoldHipDeviceXThreadblockLoopINS_17TypedRangeSegmentIllEEN8rajaperf4comm9HALO_base8UnPackerElJEEEEEvNS0_29DispatcherVoidConstPtrWrapperISB_EE.numbered_sgpr, 32
	.set .L_ZN4RAJA6detail10DispatcherILN4camp9resources2v18PlatformE8ENS_6policy9workgroup31indirect_function_call_dispatchENS6_3hip8hip_workILm1024ELb1EEEJEE15s_device_invokeINS0_29HoldHipDeviceXThreadblockLoopINS_17TypedRangeSegmentIllEEN8rajaperf4comm9HALO_base8UnPackerElJEEEEEvNS0_29DispatcherVoidConstPtrWrapperISB_EE.num_named_barrier, 0
	.set .L_ZN4RAJA6detail10DispatcherILN4camp9resources2v18PlatformE8ENS_6policy9workgroup31indirect_function_call_dispatchENS6_3hip8hip_workILm1024ELb1EEEJEE15s_device_invokeINS0_29HoldHipDeviceXThreadblockLoopINS_17TypedRangeSegmentIllEEN8rajaperf4comm9HALO_base8UnPackerElJEEEEEvNS0_29DispatcherVoidConstPtrWrapperISB_EE.private_seg_size, 0
	.set .L_ZN4RAJA6detail10DispatcherILN4camp9resources2v18PlatformE8ENS_6policy9workgroup31indirect_function_call_dispatchENS6_3hip8hip_workILm1024ELb1EEEJEE15s_device_invokeINS0_29HoldHipDeviceXThreadblockLoopINS_17TypedRangeSegmentIllEEN8rajaperf4comm9HALO_base8UnPackerElJEEEEEvNS0_29DispatcherVoidConstPtrWrapperISB_EE.uses_vcc, 1
	.set .L_ZN4RAJA6detail10DispatcherILN4camp9resources2v18PlatformE8ENS_6policy9workgroup31indirect_function_call_dispatchENS6_3hip8hip_workILm1024ELb1EEEJEE15s_device_invokeINS0_29HoldHipDeviceXThreadblockLoopINS_17TypedRangeSegmentIllEEN8rajaperf4comm9HALO_base8UnPackerElJEEEEEvNS0_29DispatcherVoidConstPtrWrapperISB_EE.uses_flat_scratch, 1
	.set .L_ZN4RAJA6detail10DispatcherILN4camp9resources2v18PlatformE8ENS_6policy9workgroup31indirect_function_call_dispatchENS6_3hip8hip_workILm1024ELb1EEEJEE15s_device_invokeINS0_29HoldHipDeviceXThreadblockLoopINS_17TypedRangeSegmentIllEEN8rajaperf4comm9HALO_base8UnPackerElJEEEEEvNS0_29DispatcherVoidConstPtrWrapperISB_EE.has_dyn_sized_stack, 0
	.set .L_ZN4RAJA6detail10DispatcherILN4camp9resources2v18PlatformE8ENS_6policy9workgroup31indirect_function_call_dispatchENS6_3hip8hip_workILm1024ELb1EEEJEE15s_device_invokeINS0_29HoldHipDeviceXThreadblockLoopINS_17TypedRangeSegmentIllEEN8rajaperf4comm9HALO_base8UnPackerElJEEEEEvNS0_29DispatcherVoidConstPtrWrapperISB_EE.has_recursion, 0
	.set .L_ZN4RAJA6detail10DispatcherILN4camp9resources2v18PlatformE8ENS_6policy9workgroup31indirect_function_call_dispatchENS6_3hip8hip_workILm1024ELb1EEEJEE15s_device_invokeINS0_29HoldHipDeviceXThreadblockLoopINS_17TypedRangeSegmentIllEEN8rajaperf4comm9HALO_base8UnPackerElJEEEEEvNS0_29DispatcherVoidConstPtrWrapperISB_EE.has_indirect_call, 0
	.section	.AMDGPU.csdata,"",@progbits
; Function info:
; codeLenInByte = 368
; TotalNumSgprs: 34
; NumVgprs: 32
; ScratchSize: 0
; MemoryBound: 0
	.section	.text._ZN4RAJA6detail3hip16get_value_globalINS0_10DispatcherILN4camp9resources2v18PlatformE8ENS_6policy9workgroup34indirect_virtual_function_dispatchENS8_3hip8hip_workILm1024ELb1EEEJEE21DeviceImplTypeFactoryINS0_29HoldHipDeviceXThreadblockLoopINS_17TypedRangeSegmentIllEEN8rajaperf4comm9HALO_base6PackerElJEEEEEEEvPNT_10value_typeESP_,"axG",@progbits,_ZN4RAJA6detail3hip16get_value_globalINS0_10DispatcherILN4camp9resources2v18PlatformE8ENS_6policy9workgroup34indirect_virtual_function_dispatchENS8_3hip8hip_workILm1024ELb1EEEJEE21DeviceImplTypeFactoryINS0_29HoldHipDeviceXThreadblockLoopINS_17TypedRangeSegmentIllEEN8rajaperf4comm9HALO_base6PackerElJEEEEEEEvPNT_10value_typeESP_,comdat
	.protected	_ZN4RAJA6detail3hip16get_value_globalINS0_10DispatcherILN4camp9resources2v18PlatformE8ENS_6policy9workgroup34indirect_virtual_function_dispatchENS8_3hip8hip_workILm1024ELb1EEEJEE21DeviceImplTypeFactoryINS0_29HoldHipDeviceXThreadblockLoopINS_17TypedRangeSegmentIllEEN8rajaperf4comm9HALO_base6PackerElJEEEEEEEvPNT_10value_typeESP_ ; -- Begin function _ZN4RAJA6detail3hip16get_value_globalINS0_10DispatcherILN4camp9resources2v18PlatformE8ENS_6policy9workgroup34indirect_virtual_function_dispatchENS8_3hip8hip_workILm1024ELb1EEEJEE21DeviceImplTypeFactoryINS0_29HoldHipDeviceXThreadblockLoopINS_17TypedRangeSegmentIllEEN8rajaperf4comm9HALO_base6PackerElJEEEEEEEvPNT_10value_typeESP_
	.globl	_ZN4RAJA6detail3hip16get_value_globalINS0_10DispatcherILN4camp9resources2v18PlatformE8ENS_6policy9workgroup34indirect_virtual_function_dispatchENS8_3hip8hip_workILm1024ELb1EEEJEE21DeviceImplTypeFactoryINS0_29HoldHipDeviceXThreadblockLoopINS_17TypedRangeSegmentIllEEN8rajaperf4comm9HALO_base6PackerElJEEEEEEEvPNT_10value_typeESP_
	.p2align	8
	.type	_ZN4RAJA6detail3hip16get_value_globalINS0_10DispatcherILN4camp9resources2v18PlatformE8ENS_6policy9workgroup34indirect_virtual_function_dispatchENS8_3hip8hip_workILm1024ELb1EEEJEE21DeviceImplTypeFactoryINS0_29HoldHipDeviceXThreadblockLoopINS_17TypedRangeSegmentIllEEN8rajaperf4comm9HALO_base6PackerElJEEEEEEEvPNT_10value_typeESP_,@function
_ZN4RAJA6detail3hip16get_value_globalINS0_10DispatcherILN4camp9resources2v18PlatformE8ENS_6policy9workgroup34indirect_virtual_function_dispatchENS8_3hip8hip_workILm1024ELb1EEEJEE21DeviceImplTypeFactoryINS0_29HoldHipDeviceXThreadblockLoopINS_17TypedRangeSegmentIllEEN8rajaperf4comm9HALO_base6PackerElJEEEEEEEvPNT_10value_typeESP_: ; @_ZN4RAJA6detail3hip16get_value_globalINS0_10DispatcherILN4camp9resources2v18PlatformE8ENS_6policy9workgroup34indirect_virtual_function_dispatchENS8_3hip8hip_workILm1024ELb1EEEJEE21DeviceImplTypeFactoryINS0_29HoldHipDeviceXThreadblockLoopINS_17TypedRangeSegmentIllEEN8rajaperf4comm9HALO_base6PackerElJEEEEEEEvPNT_10value_typeESP_
; %bb.0:
	s_load_b64 s[0:1], s[0:1], 0x0
	s_get_pc_i64 s[2:3]
	s_add_nc_u64 s[2:3], s[2:3], _ZZN4RAJA6detail10DispatcherILN4camp9resources2v18PlatformE8ENS_6policy9workgroup34indirect_virtual_function_dispatchENS6_3hip8hip_workILm1024ELb1EEEJEE21DeviceImplTypeFactoryINS0_29HoldHipDeviceXThreadblockLoopINS_17TypedRangeSegmentIllEEN8rajaperf4comm9HALO_base6PackerElJEEEEclEvE13s_device_impl@rel64+4
	v_mov_b32_e32 v2, 0
	v_mov_b64_e32 v[0:1], s[2:3]
	s_wait_kmcnt 0x0
	global_store_b64 v2, v[0:1], s[0:1]
	s_endpgm
	.section	.rodata,"a",@progbits
	.p2align	6, 0x0
	.amdhsa_kernel _ZN4RAJA6detail3hip16get_value_globalINS0_10DispatcherILN4camp9resources2v18PlatformE8ENS_6policy9workgroup34indirect_virtual_function_dispatchENS8_3hip8hip_workILm1024ELb1EEEJEE21DeviceImplTypeFactoryINS0_29HoldHipDeviceXThreadblockLoopINS_17TypedRangeSegmentIllEEN8rajaperf4comm9HALO_base6PackerElJEEEEEEEvPNT_10value_typeESP_
		.amdhsa_group_segment_fixed_size 0
		.amdhsa_private_segment_fixed_size 0
		.amdhsa_kernarg_size 12
		.amdhsa_user_sgpr_count 2
		.amdhsa_user_sgpr_dispatch_ptr 0
		.amdhsa_user_sgpr_queue_ptr 0
		.amdhsa_user_sgpr_kernarg_segment_ptr 1
		.amdhsa_user_sgpr_dispatch_id 0
		.amdhsa_user_sgpr_kernarg_preload_length 0
		.amdhsa_user_sgpr_kernarg_preload_offset 0
		.amdhsa_user_sgpr_private_segment_size 0
		.amdhsa_wavefront_size32 1
		.amdhsa_uses_dynamic_stack 0
		.amdhsa_enable_private_segment 0
		.amdhsa_system_sgpr_workgroup_id_x 1
		.amdhsa_system_sgpr_workgroup_id_y 0
		.amdhsa_system_sgpr_workgroup_id_z 0
		.amdhsa_system_sgpr_workgroup_info 0
		.amdhsa_system_vgpr_workitem_id 0
		.amdhsa_next_free_vgpr 3
		.amdhsa_next_free_sgpr 4
		.amdhsa_named_barrier_count 0
		.amdhsa_reserve_vcc 0
		.amdhsa_float_round_mode_32 0
		.amdhsa_float_round_mode_16_64 0
		.amdhsa_float_denorm_mode_32 3
		.amdhsa_float_denorm_mode_16_64 3
		.amdhsa_fp16_overflow 0
		.amdhsa_memory_ordered 1
		.amdhsa_forward_progress 1
		.amdhsa_inst_pref_size 1
		.amdhsa_round_robin_scheduling 0
		.amdhsa_exception_fp_ieee_invalid_op 0
		.amdhsa_exception_fp_denorm_src 0
		.amdhsa_exception_fp_ieee_div_zero 0
		.amdhsa_exception_fp_ieee_overflow 0
		.amdhsa_exception_fp_ieee_underflow 0
		.amdhsa_exception_fp_ieee_inexact 0
		.amdhsa_exception_int_div_zero 0
	.end_amdhsa_kernel
	.section	.text._ZN4RAJA6detail3hip16get_value_globalINS0_10DispatcherILN4camp9resources2v18PlatformE8ENS_6policy9workgroup34indirect_virtual_function_dispatchENS8_3hip8hip_workILm1024ELb1EEEJEE21DeviceImplTypeFactoryINS0_29HoldHipDeviceXThreadblockLoopINS_17TypedRangeSegmentIllEEN8rajaperf4comm9HALO_base6PackerElJEEEEEEEvPNT_10value_typeESP_,"axG",@progbits,_ZN4RAJA6detail3hip16get_value_globalINS0_10DispatcherILN4camp9resources2v18PlatformE8ENS_6policy9workgroup34indirect_virtual_function_dispatchENS8_3hip8hip_workILm1024ELb1EEEJEE21DeviceImplTypeFactoryINS0_29HoldHipDeviceXThreadblockLoopINS_17TypedRangeSegmentIllEEN8rajaperf4comm9HALO_base6PackerElJEEEEEEEvPNT_10value_typeESP_,comdat
.Lfunc_end8:
	.size	_ZN4RAJA6detail3hip16get_value_globalINS0_10DispatcherILN4camp9resources2v18PlatformE8ENS_6policy9workgroup34indirect_virtual_function_dispatchENS8_3hip8hip_workILm1024ELb1EEEJEE21DeviceImplTypeFactoryINS0_29HoldHipDeviceXThreadblockLoopINS_17TypedRangeSegmentIllEEN8rajaperf4comm9HALO_base6PackerElJEEEEEEEvPNT_10value_typeESP_, .Lfunc_end8-_ZN4RAJA6detail3hip16get_value_globalINS0_10DispatcherILN4camp9resources2v18PlatformE8ENS_6policy9workgroup34indirect_virtual_function_dispatchENS8_3hip8hip_workILm1024ELb1EEEJEE21DeviceImplTypeFactoryINS0_29HoldHipDeviceXThreadblockLoopINS_17TypedRangeSegmentIllEEN8rajaperf4comm9HALO_base6PackerElJEEEEEEEvPNT_10value_typeESP_
                                        ; -- End function
	.set _ZN4RAJA6detail3hip16get_value_globalINS0_10DispatcherILN4camp9resources2v18PlatformE8ENS_6policy9workgroup34indirect_virtual_function_dispatchENS8_3hip8hip_workILm1024ELb1EEEJEE21DeviceImplTypeFactoryINS0_29HoldHipDeviceXThreadblockLoopINS_17TypedRangeSegmentIllEEN8rajaperf4comm9HALO_base6PackerElJEEEEEEEvPNT_10value_typeESP_.num_vgpr, 3
	.set _ZN4RAJA6detail3hip16get_value_globalINS0_10DispatcherILN4camp9resources2v18PlatformE8ENS_6policy9workgroup34indirect_virtual_function_dispatchENS8_3hip8hip_workILm1024ELb1EEEJEE21DeviceImplTypeFactoryINS0_29HoldHipDeviceXThreadblockLoopINS_17TypedRangeSegmentIllEEN8rajaperf4comm9HALO_base6PackerElJEEEEEEEvPNT_10value_typeESP_.num_agpr, 0
	.set _ZN4RAJA6detail3hip16get_value_globalINS0_10DispatcherILN4camp9resources2v18PlatformE8ENS_6policy9workgroup34indirect_virtual_function_dispatchENS8_3hip8hip_workILm1024ELb1EEEJEE21DeviceImplTypeFactoryINS0_29HoldHipDeviceXThreadblockLoopINS_17TypedRangeSegmentIllEEN8rajaperf4comm9HALO_base6PackerElJEEEEEEEvPNT_10value_typeESP_.numbered_sgpr, 4
	.set _ZN4RAJA6detail3hip16get_value_globalINS0_10DispatcherILN4camp9resources2v18PlatformE8ENS_6policy9workgroup34indirect_virtual_function_dispatchENS8_3hip8hip_workILm1024ELb1EEEJEE21DeviceImplTypeFactoryINS0_29HoldHipDeviceXThreadblockLoopINS_17TypedRangeSegmentIllEEN8rajaperf4comm9HALO_base6PackerElJEEEEEEEvPNT_10value_typeESP_.num_named_barrier, 0
	.set _ZN4RAJA6detail3hip16get_value_globalINS0_10DispatcherILN4camp9resources2v18PlatformE8ENS_6policy9workgroup34indirect_virtual_function_dispatchENS8_3hip8hip_workILm1024ELb1EEEJEE21DeviceImplTypeFactoryINS0_29HoldHipDeviceXThreadblockLoopINS_17TypedRangeSegmentIllEEN8rajaperf4comm9HALO_base6PackerElJEEEEEEEvPNT_10value_typeESP_.private_seg_size, 0
	.set _ZN4RAJA6detail3hip16get_value_globalINS0_10DispatcherILN4camp9resources2v18PlatformE8ENS_6policy9workgroup34indirect_virtual_function_dispatchENS8_3hip8hip_workILm1024ELb1EEEJEE21DeviceImplTypeFactoryINS0_29HoldHipDeviceXThreadblockLoopINS_17TypedRangeSegmentIllEEN8rajaperf4comm9HALO_base6PackerElJEEEEEEEvPNT_10value_typeESP_.uses_vcc, 0
	.set _ZN4RAJA6detail3hip16get_value_globalINS0_10DispatcherILN4camp9resources2v18PlatformE8ENS_6policy9workgroup34indirect_virtual_function_dispatchENS8_3hip8hip_workILm1024ELb1EEEJEE21DeviceImplTypeFactoryINS0_29HoldHipDeviceXThreadblockLoopINS_17TypedRangeSegmentIllEEN8rajaperf4comm9HALO_base6PackerElJEEEEEEEvPNT_10value_typeESP_.uses_flat_scratch, 0
	.set _ZN4RAJA6detail3hip16get_value_globalINS0_10DispatcherILN4camp9resources2v18PlatformE8ENS_6policy9workgroup34indirect_virtual_function_dispatchENS8_3hip8hip_workILm1024ELb1EEEJEE21DeviceImplTypeFactoryINS0_29HoldHipDeviceXThreadblockLoopINS_17TypedRangeSegmentIllEEN8rajaperf4comm9HALO_base6PackerElJEEEEEEEvPNT_10value_typeESP_.has_dyn_sized_stack, 0
	.set _ZN4RAJA6detail3hip16get_value_globalINS0_10DispatcherILN4camp9resources2v18PlatformE8ENS_6policy9workgroup34indirect_virtual_function_dispatchENS8_3hip8hip_workILm1024ELb1EEEJEE21DeviceImplTypeFactoryINS0_29HoldHipDeviceXThreadblockLoopINS_17TypedRangeSegmentIllEEN8rajaperf4comm9HALO_base6PackerElJEEEEEEEvPNT_10value_typeESP_.has_recursion, 0
	.set _ZN4RAJA6detail3hip16get_value_globalINS0_10DispatcherILN4camp9resources2v18PlatformE8ENS_6policy9workgroup34indirect_virtual_function_dispatchENS8_3hip8hip_workILm1024ELb1EEEJEE21DeviceImplTypeFactoryINS0_29HoldHipDeviceXThreadblockLoopINS_17TypedRangeSegmentIllEEN8rajaperf4comm9HALO_base6PackerElJEEEEEEEvPNT_10value_typeESP_.has_indirect_call, 0
	.section	.AMDGPU.csdata,"",@progbits
; Kernel info:
; codeLenInByte = 52
; TotalNumSgprs: 4
; NumVgprs: 3
; ScratchSize: 0
; MemoryBound: 0
; FloatMode: 240
; IeeeMode: 1
; LDSByteSize: 0 bytes/workgroup (compile time only)
; SGPRBlocks: 0
; VGPRBlocks: 0
; NumSGPRsForWavesPerEU: 4
; NumVGPRsForWavesPerEU: 3
; NamedBarCnt: 0
; Occupancy: 16
; WaveLimiterHint : 0
; COMPUTE_PGM_RSRC2:SCRATCH_EN: 0
; COMPUTE_PGM_RSRC2:USER_SGPR: 2
; COMPUTE_PGM_RSRC2:TRAP_HANDLER: 0
; COMPUTE_PGM_RSRC2:TGID_X_EN: 1
; COMPUTE_PGM_RSRC2:TGID_Y_EN: 0
; COMPUTE_PGM_RSRC2:TGID_Z_EN: 0
; COMPUTE_PGM_RSRC2:TIDIG_COMP_CNT: 0
	.text
	.p2align	2                               ; -- Begin function _ZNK4RAJA6detail10DispatcherILN4camp9resources2v18PlatformE8ENS_6policy9workgroup34indirect_virtual_function_dispatchENS6_3hip8hip_workILm1024ELb1EEEJEE16device_impl_typeINS0_29HoldHipDeviceXThreadblockLoopINS_17TypedRangeSegmentIllEEN8rajaperf4comm9HALO_base6PackerElJEEEE6invokeENS0_29DispatcherVoidConstPtrWrapperISB_EE
	.type	_ZNK4RAJA6detail10DispatcherILN4camp9resources2v18PlatformE8ENS_6policy9workgroup34indirect_virtual_function_dispatchENS6_3hip8hip_workILm1024ELb1EEEJEE16device_impl_typeINS0_29HoldHipDeviceXThreadblockLoopINS_17TypedRangeSegmentIllEEN8rajaperf4comm9HALO_base6PackerElJEEEE6invokeENS0_29DispatcherVoidConstPtrWrapperISB_EE,@function
_ZNK4RAJA6detail10DispatcherILN4camp9resources2v18PlatformE8ENS_6policy9workgroup34indirect_virtual_function_dispatchENS6_3hip8hip_workILm1024ELb1EEEJEE16device_impl_typeINS0_29HoldHipDeviceXThreadblockLoopINS_17TypedRangeSegmentIllEEN8rajaperf4comm9HALO_base6PackerElJEEEE6invokeENS0_29DispatcherVoidConstPtrWrapperISB_EE: ; @_ZNK4RAJA6detail10DispatcherILN4camp9resources2v18PlatformE8ENS_6policy9workgroup34indirect_virtual_function_dispatchENS6_3hip8hip_workILm1024ELb1EEEJEE16device_impl_typeINS0_29HoldHipDeviceXThreadblockLoopINS_17TypedRangeSegmentIllEEN8rajaperf4comm9HALO_base6PackerElJEEEE6invokeENS0_29DispatcherVoidConstPtrWrapperISB_EE
; %bb.0:
	s_wait_loadcnt_dscnt 0x0
	s_wait_kmcnt 0x0
	flat_load_b128 v[8:11], v[2:3]
	s_load_b32 s2, s[8:9], 0x0
	s_bfe_u32 s0, ttmp6, 0x4000c
	s_and_b32 s1, ttmp6, 15
	s_add_co_i32 s0, s0, 1
	s_getreg_b32 s3, hwreg(HW_REG_IB_STS2, 6, 4)
	s_mul_i32 s0, ttmp9, s0
	v_and_b32_e32 v0, 0x3ff, v31
	s_add_co_i32 s1, s1, s0
	s_cmp_eq_u32 s3, 0
	v_mov_b32_e32 v1, 0
	s_cselect_b32 s3, ttmp9, s1
	s_mov_b32 s1, 0
	s_mov_b32 s6, exec_lo
	s_wait_kmcnt 0x0
	s_cmp_lt_u32 s3, s2
	s_cselect_b32 s0, 12, 18
	s_delay_alu instid0(SALU_CYCLE_1)
	s_add_nc_u64 s[4:5], s[8:9], s[0:1]
	s_load_u16 s0, s[4:5], 0x0
	s_wait_kmcnt 0x0
	v_mad_u32 v0, s3, s0, v0
	s_wait_loadcnt_dscnt 0x0
	v_sub_nc_u64_e32 v[10:11], v[10:11], v[8:9]
	s_delay_alu instid0(VALU_DEP_1)
	v_cmpx_gt_i64_e64 v[10:11], v[0:1]
	s_cbranch_execz .LBB9_3
; %bb.1:
	s_clause 0x1
	flat_load_b128 v[4:7], v[2:3] offset:16
	flat_load_b64 v[12:13], v[2:3] offset:32
	s_load_u16 s3, s[8:9], 0x12
	v_add_nc_u64_e32 v[8:9], v[8:9], v[0:1]
	s_mov_b32 s7, s1
	s_wait_kmcnt 0x0
	s_cmp_lg_u32 s3, 0
	s_cselect_b32 s3, -1, 0
	s_delay_alu instid0(SALU_CYCLE_1) | instskip(SKIP_1) | instid1(SALU_CYCLE_1)
	s_cmp_lg_u32 s3, 0
	s_add_co_ci_u32 s2, s2, 0
	s_mul_i32 s0, s2, s0
	s_delay_alu instid0(SALU_CYCLE_1)
	s_lshl_b64 s[2:3], s[0:1], 3
	s_lshl_b64 s[4:5], s[0:1], 2
	s_wait_loadcnt_dscnt 0x101
	v_lshl_add_u64 v[2:3], v[8:9], 3, v[4:5]
	s_wait_loadcnt_dscnt 0x0
	v_lshl_add_u64 v[4:5], v[8:9], 2, v[12:13]
.LBB9_2:                                ; =>This Inner Loop Header: Depth=1
	flat_load_b32 v8, v[4:5]
	v_add_nc_u64_e32 v[0:1], s[0:1], v[0:1]
	s_wait_xcnt 0x0
	v_add_nc_u64_e32 v[4:5], s[4:5], v[4:5]
	s_delay_alu instid0(VALU_DEP_2) | instskip(SKIP_3) | instid1(VALU_DEP_1)
	v_cmp_ge_i64_e32 vcc_lo, v[0:1], v[10:11]
	s_or_b32 s7, vcc_lo, s7
	s_wait_loadcnt_dscnt 0x0
	v_ashrrev_i32_e32 v9, 31, v8
	v_lshl_add_u64 v[8:9], v[8:9], 3, v[6:7]
	flat_load_b64 v[8:9], v[8:9]
	s_wait_loadcnt_dscnt 0x0
	flat_store_b64 v[2:3], v[8:9]
	s_wait_xcnt 0x0
	v_add_nc_u64_e32 v[2:3], s[2:3], v[2:3]
	s_and_not1_b32 exec_lo, exec_lo, s7
	s_cbranch_execnz .LBB9_2
.LBB9_3:
	s_or_b32 exec_lo, exec_lo, s6
	s_wait_dscnt 0x0
	s_set_pc_i64 s[30:31]
.Lfunc_end9:
	.size	_ZNK4RAJA6detail10DispatcherILN4camp9resources2v18PlatformE8ENS_6policy9workgroup34indirect_virtual_function_dispatchENS6_3hip8hip_workILm1024ELb1EEEJEE16device_impl_typeINS0_29HoldHipDeviceXThreadblockLoopINS_17TypedRangeSegmentIllEEN8rajaperf4comm9HALO_base6PackerElJEEEE6invokeENS0_29DispatcherVoidConstPtrWrapperISB_EE, .Lfunc_end9-_ZNK4RAJA6detail10DispatcherILN4camp9resources2v18PlatformE8ENS_6policy9workgroup34indirect_virtual_function_dispatchENS6_3hip8hip_workILm1024ELb1EEEJEE16device_impl_typeINS0_29HoldHipDeviceXThreadblockLoopINS_17TypedRangeSegmentIllEEN8rajaperf4comm9HALO_base6PackerElJEEEE6invokeENS0_29DispatcherVoidConstPtrWrapperISB_EE
                                        ; -- End function
	.set .L_ZNK4RAJA6detail10DispatcherILN4camp9resources2v18PlatformE8ENS_6policy9workgroup34indirect_virtual_function_dispatchENS6_3hip8hip_workILm1024ELb1EEEJEE16device_impl_typeINS0_29HoldHipDeviceXThreadblockLoopINS_17TypedRangeSegmentIllEEN8rajaperf4comm9HALO_base6PackerElJEEEE6invokeENS0_29DispatcherVoidConstPtrWrapperISB_EE.num_vgpr, 32
	.set .L_ZNK4RAJA6detail10DispatcherILN4camp9resources2v18PlatformE8ENS_6policy9workgroup34indirect_virtual_function_dispatchENS6_3hip8hip_workILm1024ELb1EEEJEE16device_impl_typeINS0_29HoldHipDeviceXThreadblockLoopINS_17TypedRangeSegmentIllEEN8rajaperf4comm9HALO_base6PackerElJEEEE6invokeENS0_29DispatcherVoidConstPtrWrapperISB_EE.num_agpr, 0
	.set .L_ZNK4RAJA6detail10DispatcherILN4camp9resources2v18PlatformE8ENS_6policy9workgroup34indirect_virtual_function_dispatchENS6_3hip8hip_workILm1024ELb1EEEJEE16device_impl_typeINS0_29HoldHipDeviceXThreadblockLoopINS_17TypedRangeSegmentIllEEN8rajaperf4comm9HALO_base6PackerElJEEEE6invokeENS0_29DispatcherVoidConstPtrWrapperISB_EE.numbered_sgpr, 32
	.set .L_ZNK4RAJA6detail10DispatcherILN4camp9resources2v18PlatformE8ENS_6policy9workgroup34indirect_virtual_function_dispatchENS6_3hip8hip_workILm1024ELb1EEEJEE16device_impl_typeINS0_29HoldHipDeviceXThreadblockLoopINS_17TypedRangeSegmentIllEEN8rajaperf4comm9HALO_base6PackerElJEEEE6invokeENS0_29DispatcherVoidConstPtrWrapperISB_EE.num_named_barrier, 0
	.set .L_ZNK4RAJA6detail10DispatcherILN4camp9resources2v18PlatformE8ENS_6policy9workgroup34indirect_virtual_function_dispatchENS6_3hip8hip_workILm1024ELb1EEEJEE16device_impl_typeINS0_29HoldHipDeviceXThreadblockLoopINS_17TypedRangeSegmentIllEEN8rajaperf4comm9HALO_base6PackerElJEEEE6invokeENS0_29DispatcherVoidConstPtrWrapperISB_EE.private_seg_size, 0
	.set .L_ZNK4RAJA6detail10DispatcherILN4camp9resources2v18PlatformE8ENS_6policy9workgroup34indirect_virtual_function_dispatchENS6_3hip8hip_workILm1024ELb1EEEJEE16device_impl_typeINS0_29HoldHipDeviceXThreadblockLoopINS_17TypedRangeSegmentIllEEN8rajaperf4comm9HALO_base6PackerElJEEEE6invokeENS0_29DispatcherVoidConstPtrWrapperISB_EE.uses_vcc, 1
	.set .L_ZNK4RAJA6detail10DispatcherILN4camp9resources2v18PlatformE8ENS_6policy9workgroup34indirect_virtual_function_dispatchENS6_3hip8hip_workILm1024ELb1EEEJEE16device_impl_typeINS0_29HoldHipDeviceXThreadblockLoopINS_17TypedRangeSegmentIllEEN8rajaperf4comm9HALO_base6PackerElJEEEE6invokeENS0_29DispatcherVoidConstPtrWrapperISB_EE.uses_flat_scratch, 1
	.set .L_ZNK4RAJA6detail10DispatcherILN4camp9resources2v18PlatformE8ENS_6policy9workgroup34indirect_virtual_function_dispatchENS6_3hip8hip_workILm1024ELb1EEEJEE16device_impl_typeINS0_29HoldHipDeviceXThreadblockLoopINS_17TypedRangeSegmentIllEEN8rajaperf4comm9HALO_base6PackerElJEEEE6invokeENS0_29DispatcherVoidConstPtrWrapperISB_EE.has_dyn_sized_stack, 0
	.set .L_ZNK4RAJA6detail10DispatcherILN4camp9resources2v18PlatformE8ENS_6policy9workgroup34indirect_virtual_function_dispatchENS6_3hip8hip_workILm1024ELb1EEEJEE16device_impl_typeINS0_29HoldHipDeviceXThreadblockLoopINS_17TypedRangeSegmentIllEEN8rajaperf4comm9HALO_base6PackerElJEEEE6invokeENS0_29DispatcherVoidConstPtrWrapperISB_EE.has_recursion, 0
	.set .L_ZNK4RAJA6detail10DispatcherILN4camp9resources2v18PlatformE8ENS_6policy9workgroup34indirect_virtual_function_dispatchENS6_3hip8hip_workILm1024ELb1EEEJEE16device_impl_typeINS0_29HoldHipDeviceXThreadblockLoopINS_17TypedRangeSegmentIllEEN8rajaperf4comm9HALO_base6PackerElJEEEE6invokeENS0_29DispatcherVoidConstPtrWrapperISB_EE.has_indirect_call, 0
	.section	.AMDGPU.csdata,"",@progbits
; Function info:
; codeLenInByte = 364
; TotalNumSgprs: 34
; NumVgprs: 32
; ScratchSize: 0
; MemoryBound: 0
	.section	.text._ZN4RAJA6detail28hip_unordered_y_block_globalILm1024ENS0_22random_access_iteratorINS0_11WorkStorageINS_6policy9workgroup32constant_stride_array_of_objectsEN8rajaperf23RAJAPoolAllocatorHolderINS_13basic_mempool7MemPoolINS_3hip15PinnedAllocatorEEEE9AllocatorIcEENS0_10DispatcherILN4camp9resources2v18PlatformE8ENS5_34indirect_virtual_function_dispatchENS4_3hip8hip_workILm1024ELb1EEEJEEEE19const_iterator_baseEEENS0_10WorkStructILm16ESQ_EElJEEEvT0_DpT3_,"axG",@progbits,_ZN4RAJA6detail28hip_unordered_y_block_globalILm1024ENS0_22random_access_iteratorINS0_11WorkStorageINS_6policy9workgroup32constant_stride_array_of_objectsEN8rajaperf23RAJAPoolAllocatorHolderINS_13basic_mempool7MemPoolINS_3hip15PinnedAllocatorEEEE9AllocatorIcEENS0_10DispatcherILN4camp9resources2v18PlatformE8ENS5_34indirect_virtual_function_dispatchENS4_3hip8hip_workILm1024ELb1EEEJEEEE19const_iterator_baseEEENS0_10WorkStructILm16ESQ_EElJEEEvT0_DpT3_,comdat
	.protected	_ZN4RAJA6detail28hip_unordered_y_block_globalILm1024ENS0_22random_access_iteratorINS0_11WorkStorageINS_6policy9workgroup32constant_stride_array_of_objectsEN8rajaperf23RAJAPoolAllocatorHolderINS_13basic_mempool7MemPoolINS_3hip15PinnedAllocatorEEEE9AllocatorIcEENS0_10DispatcherILN4camp9resources2v18PlatformE8ENS5_34indirect_virtual_function_dispatchENS4_3hip8hip_workILm1024ELb1EEEJEEEE19const_iterator_baseEEENS0_10WorkStructILm16ESQ_EElJEEEvT0_DpT3_ ; -- Begin function _ZN4RAJA6detail28hip_unordered_y_block_globalILm1024ENS0_22random_access_iteratorINS0_11WorkStorageINS_6policy9workgroup32constant_stride_array_of_objectsEN8rajaperf23RAJAPoolAllocatorHolderINS_13basic_mempool7MemPoolINS_3hip15PinnedAllocatorEEEE9AllocatorIcEENS0_10DispatcherILN4camp9resources2v18PlatformE8ENS5_34indirect_virtual_function_dispatchENS4_3hip8hip_workILm1024ELb1EEEJEEEE19const_iterator_baseEEENS0_10WorkStructILm16ESQ_EElJEEEvT0_DpT3_
	.globl	_ZN4RAJA6detail28hip_unordered_y_block_globalILm1024ENS0_22random_access_iteratorINS0_11WorkStorageINS_6policy9workgroup32constant_stride_array_of_objectsEN8rajaperf23RAJAPoolAllocatorHolderINS_13basic_mempool7MemPoolINS_3hip15PinnedAllocatorEEEE9AllocatorIcEENS0_10DispatcherILN4camp9resources2v18PlatformE8ENS5_34indirect_virtual_function_dispatchENS4_3hip8hip_workILm1024ELb1EEEJEEEE19const_iterator_baseEEENS0_10WorkStructILm16ESQ_EElJEEEvT0_DpT3_
	.p2align	8
	.type	_ZN4RAJA6detail28hip_unordered_y_block_globalILm1024ENS0_22random_access_iteratorINS0_11WorkStorageINS_6policy9workgroup32constant_stride_array_of_objectsEN8rajaperf23RAJAPoolAllocatorHolderINS_13basic_mempool7MemPoolINS_3hip15PinnedAllocatorEEEE9AllocatorIcEENS0_10DispatcherILN4camp9resources2v18PlatformE8ENS5_34indirect_virtual_function_dispatchENS4_3hip8hip_workILm1024ELb1EEEJEEEE19const_iterator_baseEEENS0_10WorkStructILm16ESQ_EElJEEEvT0_DpT3_,@function
_ZN4RAJA6detail28hip_unordered_y_block_globalILm1024ENS0_22random_access_iteratorINS0_11WorkStorageINS_6policy9workgroup32constant_stride_array_of_objectsEN8rajaperf23RAJAPoolAllocatorHolderINS_13basic_mempool7MemPoolINS_3hip15PinnedAllocatorEEEE9AllocatorIcEENS0_10DispatcherILN4camp9resources2v18PlatformE8ENS5_34indirect_virtual_function_dispatchENS4_3hip8hip_workILm1024ELb1EEEJEEEE19const_iterator_baseEEENS0_10WorkStructILm16ESQ_EElJEEEvT0_DpT3_: ; @_ZN4RAJA6detail28hip_unordered_y_block_globalILm1024ENS0_22random_access_iteratorINS0_11WorkStorageINS_6policy9workgroup32constant_stride_array_of_objectsEN8rajaperf23RAJAPoolAllocatorHolderINS_13basic_mempool7MemPoolINS_3hip15PinnedAllocatorEEEE9AllocatorIcEENS0_10DispatcherILN4camp9resources2v18PlatformE8ENS5_34indirect_virtual_function_dispatchENS4_3hip8hip_workILm1024ELb1EEEJEEEE19const_iterator_baseEEENS0_10WorkStructILm16ESQ_EElJEEEvT0_DpT3_
; %bb.0:
	s_mov_b64 s[36:37], s[2:3]
	s_mov_b64 s[38:39], s[0:1]
	s_load_b128 s[0:3], s[4:5], 0x0
	s_mov_b64 s[34:35], s[6:7]
	s_bfe_u32 s6, ttmp6, 0x40010
	s_and_b32 s8, ttmp7, 0xffff
	s_add_co_i32 s6, s6, 1
	s_bfe_u32 s7, ttmp6, 0x40004
	s_mul_i32 s6, s8, s6
	s_getreg_b32 s9, hwreg(HW_REG_IB_STS2, 6, 4)
	s_add_co_i32 s6, s7, s6
	s_cmp_eq_u32 s9, 0
	s_mov_b32 s7, 0
	s_cselect_b32 s6, s8, s6
	v_dual_mov_b32 v31, v0 :: v_dual_mov_b32 v0, 0
	s_add_nc_u64 s[48:49], s[4:5], 16
	s_mov_b32 s32, 0
	s_wait_kmcnt 0x0
	s_mul_u64 s[2:3], s[2:3], s[6:7]
	s_delay_alu instid0(SALU_CYCLE_1)
	s_add_nc_u64 s[0:1], s[0:1], s[2:3]
	s_load_b64 s[50:51], s[0:1], 0x8
	s_add_nc_u64 s[52:53], s[0:1], 16
	s_wait_xcnt 0x0
	s_mov_b32 s0, exec_lo
	s_wait_kmcnt 0x0
	flat_load_b64 v[0:1], v0, s[50:51]
	s_wait_loadcnt_dscnt 0x0
	global_load_b64 v[0:1], v[0:1], off
.LBB10_1:                               ; =>This Inner Loop Header: Depth=1
	s_wait_loadcnt 0x0
	v_readfirstlane_b32 s0, v0
	v_readfirstlane_b32 s1, v1
	s_mov_b32 s33, exec_lo
	s_wait_xcnt 0x0
	v_cmpx_eq_u64_e64 s[0:1], v[0:1]
	v_dual_mov_b32 v0, s50 :: v_dual_mov_b32 v1, s51
	v_dual_mov_b32 v2, s52 :: v_dual_mov_b32 v3, s53
	s_mov_b64 s[4:5], s[38:39]
	s_mov_b64 s[6:7], s[36:37]
	;; [unrolled: 1-line block ×4, first 2 shown]
	s_swap_pc_i64 s[30:31], s[0:1]
                                        ; implicit-def: $vgpr0_vgpr1
                                        ; implicit-def: $vgpr31
	s_xor_b32 exec_lo, exec_lo, s33
	s_cbranch_execnz .LBB10_1
; %bb.2:
	s_endpgm
	.section	.rodata,"a",@progbits
	.p2align	6, 0x0
	.amdhsa_kernel _ZN4RAJA6detail28hip_unordered_y_block_globalILm1024ENS0_22random_access_iteratorINS0_11WorkStorageINS_6policy9workgroup32constant_stride_array_of_objectsEN8rajaperf23RAJAPoolAllocatorHolderINS_13basic_mempool7MemPoolINS_3hip15PinnedAllocatorEEEE9AllocatorIcEENS0_10DispatcherILN4camp9resources2v18PlatformE8ENS5_34indirect_virtual_function_dispatchENS4_3hip8hip_workILm1024ELb1EEEJEEEE19const_iterator_baseEEENS0_10WorkStructILm16ESQ_EElJEEEvT0_DpT3_
		.amdhsa_group_segment_fixed_size 0
		.amdhsa_private_segment_fixed_size 0
		.amdhsa_kernarg_size 272
		.amdhsa_user_sgpr_count 8
		.amdhsa_user_sgpr_dispatch_ptr 1
		.amdhsa_user_sgpr_queue_ptr 1
		.amdhsa_user_sgpr_kernarg_segment_ptr 1
		.amdhsa_user_sgpr_dispatch_id 1
		.amdhsa_user_sgpr_kernarg_preload_length 0
		.amdhsa_user_sgpr_kernarg_preload_offset 0
		.amdhsa_user_sgpr_private_segment_size 0
		.amdhsa_wavefront_size32 1
		.amdhsa_uses_dynamic_stack 1
		.amdhsa_enable_private_segment 1
		.amdhsa_system_sgpr_workgroup_id_x 1
		.amdhsa_system_sgpr_workgroup_id_y 1
		.amdhsa_system_sgpr_workgroup_id_z 1
		.amdhsa_system_sgpr_workgroup_info 0
		.amdhsa_system_vgpr_workitem_id 2
		.amdhsa_next_free_vgpr max(totalnumvgprs(_ZN4RAJA6detail28hip_unordered_y_block_globalILm1024ENS0_22random_access_iteratorINS0_11WorkStorageINS_6policy9workgroup32constant_stride_array_of_objectsEN8rajaperf23RAJAPoolAllocatorHolderINS_13basic_mempool7MemPoolINS_3hip15PinnedAllocatorEEEE9AllocatorIcEENS0_10DispatcherILN4camp9resources2v18PlatformE8ENS5_34indirect_virtual_function_dispatchENS4_3hip8hip_workILm1024ELb1EEEJEEEE19const_iterator_baseEEENS0_10WorkStructILm16ESQ_EElJEEEvT0_DpT3_.num_agpr, _ZN4RAJA6detail28hip_unordered_y_block_globalILm1024ENS0_22random_access_iteratorINS0_11WorkStorageINS_6policy9workgroup32constant_stride_array_of_objectsEN8rajaperf23RAJAPoolAllocatorHolderINS_13basic_mempool7MemPoolINS_3hip15PinnedAllocatorEEEE9AllocatorIcEENS0_10DispatcherILN4camp9resources2v18PlatformE8ENS5_34indirect_virtual_function_dispatchENS4_3hip8hip_workILm1024ELb1EEEJEEEE19const_iterator_baseEEENS0_10WorkStructILm16ESQ_EElJEEEvT0_DpT3_.num_vgpr), 1, 0)
		.amdhsa_next_free_sgpr max(_ZN4RAJA6detail28hip_unordered_y_block_globalILm1024ENS0_22random_access_iteratorINS0_11WorkStorageINS_6policy9workgroup32constant_stride_array_of_objectsEN8rajaperf23RAJAPoolAllocatorHolderINS_13basic_mempool7MemPoolINS_3hip15PinnedAllocatorEEEE9AllocatorIcEENS0_10DispatcherILN4camp9resources2v18PlatformE8ENS5_34indirect_virtual_function_dispatchENS4_3hip8hip_workILm1024ELb1EEEJEEEE19const_iterator_baseEEENS0_10WorkStructILm16ESQ_EElJEEEvT0_DpT3_.numbered_sgpr+2, 1, 0)-2
		.amdhsa_named_barrier_count (((((alignto(_ZN4RAJA6detail28hip_unordered_y_block_globalILm1024ENS0_22random_access_iteratorINS0_11WorkStorageINS_6policy9workgroup32constant_stride_array_of_objectsEN8rajaperf23RAJAPoolAllocatorHolderINS_13basic_mempool7MemPoolINS_3hip15PinnedAllocatorEEEE9AllocatorIcEENS0_10DispatcherILN4camp9resources2v18PlatformE8ENS5_34indirect_virtual_function_dispatchENS4_3hip8hip_workILm1024ELb1EEEJEEEE19const_iterator_baseEEENS0_10WorkStructILm16ESQ_EElJEEEvT0_DpT3_.num_named_barrier, 4)/4)<<14)&~4080)|32)&114688)>>14
		.amdhsa_reserve_vcc 1
		.amdhsa_float_round_mode_32 0
		.amdhsa_float_round_mode_16_64 0
		.amdhsa_float_denorm_mode_32 3
		.amdhsa_float_denorm_mode_16_64 3
		.amdhsa_fp16_overflow 0
		.amdhsa_memory_ordered 1
		.amdhsa_forward_progress 1
		.amdhsa_inst_pref_size 2
		.amdhsa_round_robin_scheduling 0
		.amdhsa_exception_fp_ieee_invalid_op 0
		.amdhsa_exception_fp_denorm_src 0
		.amdhsa_exception_fp_ieee_div_zero 0
		.amdhsa_exception_fp_ieee_overflow 0
		.amdhsa_exception_fp_ieee_underflow 0
		.amdhsa_exception_fp_ieee_inexact 0
		.amdhsa_exception_int_div_zero 0
	.end_amdhsa_kernel
	.section	.text._ZN4RAJA6detail28hip_unordered_y_block_globalILm1024ENS0_22random_access_iteratorINS0_11WorkStorageINS_6policy9workgroup32constant_stride_array_of_objectsEN8rajaperf23RAJAPoolAllocatorHolderINS_13basic_mempool7MemPoolINS_3hip15PinnedAllocatorEEEE9AllocatorIcEENS0_10DispatcherILN4camp9resources2v18PlatformE8ENS5_34indirect_virtual_function_dispatchENS4_3hip8hip_workILm1024ELb1EEEJEEEE19const_iterator_baseEEENS0_10WorkStructILm16ESQ_EElJEEEvT0_DpT3_,"axG",@progbits,_ZN4RAJA6detail28hip_unordered_y_block_globalILm1024ENS0_22random_access_iteratorINS0_11WorkStorageINS_6policy9workgroup32constant_stride_array_of_objectsEN8rajaperf23RAJAPoolAllocatorHolderINS_13basic_mempool7MemPoolINS_3hip15PinnedAllocatorEEEE9AllocatorIcEENS0_10DispatcherILN4camp9resources2v18PlatformE8ENS5_34indirect_virtual_function_dispatchENS4_3hip8hip_workILm1024ELb1EEEJEEEE19const_iterator_baseEEENS0_10WorkStructILm16ESQ_EElJEEEvT0_DpT3_,comdat
.Lfunc_end10:
	.size	_ZN4RAJA6detail28hip_unordered_y_block_globalILm1024ENS0_22random_access_iteratorINS0_11WorkStorageINS_6policy9workgroup32constant_stride_array_of_objectsEN8rajaperf23RAJAPoolAllocatorHolderINS_13basic_mempool7MemPoolINS_3hip15PinnedAllocatorEEEE9AllocatorIcEENS0_10DispatcherILN4camp9resources2v18PlatformE8ENS5_34indirect_virtual_function_dispatchENS4_3hip8hip_workILm1024ELb1EEEJEEEE19const_iterator_baseEEENS0_10WorkStructILm16ESQ_EElJEEEvT0_DpT3_, .Lfunc_end10-_ZN4RAJA6detail28hip_unordered_y_block_globalILm1024ENS0_22random_access_iteratorINS0_11WorkStorageINS_6policy9workgroup32constant_stride_array_of_objectsEN8rajaperf23RAJAPoolAllocatorHolderINS_13basic_mempool7MemPoolINS_3hip15PinnedAllocatorEEEE9AllocatorIcEENS0_10DispatcherILN4camp9resources2v18PlatformE8ENS5_34indirect_virtual_function_dispatchENS4_3hip8hip_workILm1024ELb1EEEJEEEE19const_iterator_baseEEENS0_10WorkStructILm16ESQ_EElJEEEvT0_DpT3_
                                        ; -- End function
	.set _ZN4RAJA6detail28hip_unordered_y_block_globalILm1024ENS0_22random_access_iteratorINS0_11WorkStorageINS_6policy9workgroup32constant_stride_array_of_objectsEN8rajaperf23RAJAPoolAllocatorHolderINS_13basic_mempool7MemPoolINS_3hip15PinnedAllocatorEEEE9AllocatorIcEENS0_10DispatcherILN4camp9resources2v18PlatformE8ENS5_34indirect_virtual_function_dispatchENS4_3hip8hip_workILm1024ELb1EEEJEEEE19const_iterator_baseEEENS0_10WorkStructILm16ESQ_EElJEEEvT0_DpT3_.num_vgpr, max(32, amdgpu.max_num_vgpr)
	.set _ZN4RAJA6detail28hip_unordered_y_block_globalILm1024ENS0_22random_access_iteratorINS0_11WorkStorageINS_6policy9workgroup32constant_stride_array_of_objectsEN8rajaperf23RAJAPoolAllocatorHolderINS_13basic_mempool7MemPoolINS_3hip15PinnedAllocatorEEEE9AllocatorIcEENS0_10DispatcherILN4camp9resources2v18PlatformE8ENS5_34indirect_virtual_function_dispatchENS4_3hip8hip_workILm1024ELb1EEEJEEEE19const_iterator_baseEEENS0_10WorkStructILm16ESQ_EElJEEEvT0_DpT3_.num_agpr, max(0, amdgpu.max_num_agpr)
	.set _ZN4RAJA6detail28hip_unordered_y_block_globalILm1024ENS0_22random_access_iteratorINS0_11WorkStorageINS_6policy9workgroup32constant_stride_array_of_objectsEN8rajaperf23RAJAPoolAllocatorHolderINS_13basic_mempool7MemPoolINS_3hip15PinnedAllocatorEEEE9AllocatorIcEENS0_10DispatcherILN4camp9resources2v18PlatformE8ENS5_34indirect_virtual_function_dispatchENS4_3hip8hip_workILm1024ELb1EEEJEEEE19const_iterator_baseEEENS0_10WorkStructILm16ESQ_EElJEEEvT0_DpT3_.numbered_sgpr, max(54, amdgpu.max_num_sgpr)
	.set _ZN4RAJA6detail28hip_unordered_y_block_globalILm1024ENS0_22random_access_iteratorINS0_11WorkStorageINS_6policy9workgroup32constant_stride_array_of_objectsEN8rajaperf23RAJAPoolAllocatorHolderINS_13basic_mempool7MemPoolINS_3hip15PinnedAllocatorEEEE9AllocatorIcEENS0_10DispatcherILN4camp9resources2v18PlatformE8ENS5_34indirect_virtual_function_dispatchENS4_3hip8hip_workILm1024ELb1EEEJEEEE19const_iterator_baseEEENS0_10WorkStructILm16ESQ_EElJEEEvT0_DpT3_.num_named_barrier, max(0, amdgpu.max_num_named_barrier)
	.set _ZN4RAJA6detail28hip_unordered_y_block_globalILm1024ENS0_22random_access_iteratorINS0_11WorkStorageINS_6policy9workgroup32constant_stride_array_of_objectsEN8rajaperf23RAJAPoolAllocatorHolderINS_13basic_mempool7MemPoolINS_3hip15PinnedAllocatorEEEE9AllocatorIcEENS0_10DispatcherILN4camp9resources2v18PlatformE8ENS5_34indirect_virtual_function_dispatchENS4_3hip8hip_workILm1024ELb1EEEJEEEE19const_iterator_baseEEENS0_10WorkStructILm16ESQ_EElJEEEvT0_DpT3_.private_seg_size, 0
	.set _ZN4RAJA6detail28hip_unordered_y_block_globalILm1024ENS0_22random_access_iteratorINS0_11WorkStorageINS_6policy9workgroup32constant_stride_array_of_objectsEN8rajaperf23RAJAPoolAllocatorHolderINS_13basic_mempool7MemPoolINS_3hip15PinnedAllocatorEEEE9AllocatorIcEENS0_10DispatcherILN4camp9resources2v18PlatformE8ENS5_34indirect_virtual_function_dispatchENS4_3hip8hip_workILm1024ELb1EEEJEEEE19const_iterator_baseEEENS0_10WorkStructILm16ESQ_EElJEEEvT0_DpT3_.uses_vcc, 1
	.set _ZN4RAJA6detail28hip_unordered_y_block_globalILm1024ENS0_22random_access_iteratorINS0_11WorkStorageINS_6policy9workgroup32constant_stride_array_of_objectsEN8rajaperf23RAJAPoolAllocatorHolderINS_13basic_mempool7MemPoolINS_3hip15PinnedAllocatorEEEE9AllocatorIcEENS0_10DispatcherILN4camp9resources2v18PlatformE8ENS5_34indirect_virtual_function_dispatchENS4_3hip8hip_workILm1024ELb1EEEJEEEE19const_iterator_baseEEENS0_10WorkStructILm16ESQ_EElJEEEvT0_DpT3_.uses_flat_scratch, 1
	.set _ZN4RAJA6detail28hip_unordered_y_block_globalILm1024ENS0_22random_access_iteratorINS0_11WorkStorageINS_6policy9workgroup32constant_stride_array_of_objectsEN8rajaperf23RAJAPoolAllocatorHolderINS_13basic_mempool7MemPoolINS_3hip15PinnedAllocatorEEEE9AllocatorIcEENS0_10DispatcherILN4camp9resources2v18PlatformE8ENS5_34indirect_virtual_function_dispatchENS4_3hip8hip_workILm1024ELb1EEEJEEEE19const_iterator_baseEEENS0_10WorkStructILm16ESQ_EElJEEEvT0_DpT3_.has_dyn_sized_stack, 1
	.set _ZN4RAJA6detail28hip_unordered_y_block_globalILm1024ENS0_22random_access_iteratorINS0_11WorkStorageINS_6policy9workgroup32constant_stride_array_of_objectsEN8rajaperf23RAJAPoolAllocatorHolderINS_13basic_mempool7MemPoolINS_3hip15PinnedAllocatorEEEE9AllocatorIcEENS0_10DispatcherILN4camp9resources2v18PlatformE8ENS5_34indirect_virtual_function_dispatchENS4_3hip8hip_workILm1024ELb1EEEJEEEE19const_iterator_baseEEENS0_10WorkStructILm16ESQ_EElJEEEvT0_DpT3_.has_recursion, 1
	.set _ZN4RAJA6detail28hip_unordered_y_block_globalILm1024ENS0_22random_access_iteratorINS0_11WorkStorageINS_6policy9workgroup32constant_stride_array_of_objectsEN8rajaperf23RAJAPoolAllocatorHolderINS_13basic_mempool7MemPoolINS_3hip15PinnedAllocatorEEEE9AllocatorIcEENS0_10DispatcherILN4camp9resources2v18PlatformE8ENS5_34indirect_virtual_function_dispatchENS4_3hip8hip_workILm1024ELb1EEEJEEEE19const_iterator_baseEEENS0_10WorkStructILm16ESQ_EElJEEEvT0_DpT3_.has_indirect_call, 1
	.section	.AMDGPU.csdata,"",@progbits
; Kernel info:
; codeLenInByte = 232
; TotalNumSgprs: _ZN4RAJA6detail28hip_unordered_y_block_globalILm1024ENS0_22random_access_iteratorINS0_11WorkStorageINS_6policy9workgroup32constant_stride_array_of_objectsEN8rajaperf23RAJAPoolAllocatorHolderINS_13basic_mempool7MemPoolINS_3hip15PinnedAllocatorEEEE9AllocatorIcEENS0_10DispatcherILN4camp9resources2v18PlatformE8ENS5_34indirect_virtual_function_dispatchENS4_3hip8hip_workILm1024ELb1EEEJEEEE19const_iterator_baseEEENS0_10WorkStructILm16ESQ_EElJEEEvT0_DpT3_.numbered_sgpr+2
; NumVgprs: _ZN4RAJA6detail28hip_unordered_y_block_globalILm1024ENS0_22random_access_iteratorINS0_11WorkStorageINS_6policy9workgroup32constant_stride_array_of_objectsEN8rajaperf23RAJAPoolAllocatorHolderINS_13basic_mempool7MemPoolINS_3hip15PinnedAllocatorEEEE9AllocatorIcEENS0_10DispatcherILN4camp9resources2v18PlatformE8ENS5_34indirect_virtual_function_dispatchENS4_3hip8hip_workILm1024ELb1EEEJEEEE19const_iterator_baseEEENS0_10WorkStructILm16ESQ_EElJEEEvT0_DpT3_.num_vgpr
; ScratchSize: 0
; MemoryBound: 0
; FloatMode: 240
; IeeeMode: 1
; LDSByteSize: 0 bytes/workgroup (compile time only)
; SGPRBlocks: 0
; VGPRBlocks: (alignto(max(max(totalnumvgprs(_ZN4RAJA6detail28hip_unordered_y_block_globalILm1024ENS0_22random_access_iteratorINS0_11WorkStorageINS_6policy9workgroup32constant_stride_array_of_objectsEN8rajaperf23RAJAPoolAllocatorHolderINS_13basic_mempool7MemPoolINS_3hip15PinnedAllocatorEEEE9AllocatorIcEENS0_10DispatcherILN4camp9resources2v18PlatformE8ENS5_34indirect_virtual_function_dispatchENS4_3hip8hip_workILm1024ELb1EEEJEEEE19const_iterator_baseEEENS0_10WorkStructILm16ESQ_EElJEEEvT0_DpT3_.num_agpr, _ZN4RAJA6detail28hip_unordered_y_block_globalILm1024ENS0_22random_access_iteratorINS0_11WorkStorageINS_6policy9workgroup32constant_stride_array_of_objectsEN8rajaperf23RAJAPoolAllocatorHolderINS_13basic_mempool7MemPoolINS_3hip15PinnedAllocatorEEEE9AllocatorIcEENS0_10DispatcherILN4camp9resources2v18PlatformE8ENS5_34indirect_virtual_function_dispatchENS4_3hip8hip_workILm1024ELb1EEEJEEEE19const_iterator_baseEEENS0_10WorkStructILm16ESQ_EElJEEEvT0_DpT3_.num_vgpr), 1, 0), 1), 16)/16)-1
; NumSGPRsForWavesPerEU: max(_ZN4RAJA6detail28hip_unordered_y_block_globalILm1024ENS0_22random_access_iteratorINS0_11WorkStorageINS_6policy9workgroup32constant_stride_array_of_objectsEN8rajaperf23RAJAPoolAllocatorHolderINS_13basic_mempool7MemPoolINS_3hip15PinnedAllocatorEEEE9AllocatorIcEENS0_10DispatcherILN4camp9resources2v18PlatformE8ENS5_34indirect_virtual_function_dispatchENS4_3hip8hip_workILm1024ELb1EEEJEEEE19const_iterator_baseEEENS0_10WorkStructILm16ESQ_EElJEEEvT0_DpT3_.numbered_sgpr+2, 1, 0)
; NumVGPRsForWavesPerEU: max(totalnumvgprs(_ZN4RAJA6detail28hip_unordered_y_block_globalILm1024ENS0_22random_access_iteratorINS0_11WorkStorageINS_6policy9workgroup32constant_stride_array_of_objectsEN8rajaperf23RAJAPoolAllocatorHolderINS_13basic_mempool7MemPoolINS_3hip15PinnedAllocatorEEEE9AllocatorIcEENS0_10DispatcherILN4camp9resources2v18PlatformE8ENS5_34indirect_virtual_function_dispatchENS4_3hip8hip_workILm1024ELb1EEEJEEEE19const_iterator_baseEEENS0_10WorkStructILm16ESQ_EElJEEEvT0_DpT3_.num_agpr, _ZN4RAJA6detail28hip_unordered_y_block_globalILm1024ENS0_22random_access_iteratorINS0_11WorkStorageINS_6policy9workgroup32constant_stride_array_of_objectsEN8rajaperf23RAJAPoolAllocatorHolderINS_13basic_mempool7MemPoolINS_3hip15PinnedAllocatorEEEE9AllocatorIcEENS0_10DispatcherILN4camp9resources2v18PlatformE8ENS5_34indirect_virtual_function_dispatchENS4_3hip8hip_workILm1024ELb1EEEJEEEE19const_iterator_baseEEENS0_10WorkStructILm16ESQ_EElJEEEvT0_DpT3_.num_vgpr), 1, 0)
; NamedBarCnt: alignto(_ZN4RAJA6detail28hip_unordered_y_block_globalILm1024ENS0_22random_access_iteratorINS0_11WorkStorageINS_6policy9workgroup32constant_stride_array_of_objectsEN8rajaperf23RAJAPoolAllocatorHolderINS_13basic_mempool7MemPoolINS_3hip15PinnedAllocatorEEEE9AllocatorIcEENS0_10DispatcherILN4camp9resources2v18PlatformE8ENS5_34indirect_virtual_function_dispatchENS4_3hip8hip_workILm1024ELb1EEEJEEEE19const_iterator_baseEEENS0_10WorkStructILm16ESQ_EElJEEEvT0_DpT3_.num_named_barrier, 4)/4
; Occupancy: occupancy(16, 16, 1024, 11, 16, max(_ZN4RAJA6detail28hip_unordered_y_block_globalILm1024ENS0_22random_access_iteratorINS0_11WorkStorageINS_6policy9workgroup32constant_stride_array_of_objectsEN8rajaperf23RAJAPoolAllocatorHolderINS_13basic_mempool7MemPoolINS_3hip15PinnedAllocatorEEEE9AllocatorIcEENS0_10DispatcherILN4camp9resources2v18PlatformE8ENS5_34indirect_virtual_function_dispatchENS4_3hip8hip_workILm1024ELb1EEEJEEEE19const_iterator_baseEEENS0_10WorkStructILm16ESQ_EElJEEEvT0_DpT3_.numbered_sgpr+extrasgprs(_ZN4RAJA6detail28hip_unordered_y_block_globalILm1024ENS0_22random_access_iteratorINS0_11WorkStorageINS_6policy9workgroup32constant_stride_array_of_objectsEN8rajaperf23RAJAPoolAllocatorHolderINS_13basic_mempool7MemPoolINS_3hip15PinnedAllocatorEEEE9AllocatorIcEENS0_10DispatcherILN4camp9resources2v18PlatformE8ENS5_34indirect_virtual_function_dispatchENS4_3hip8hip_workILm1024ELb1EEEJEEEE19const_iterator_baseEEENS0_10WorkStructILm16ESQ_EElJEEEvT0_DpT3_.uses_vcc, _ZN4RAJA6detail28hip_unordered_y_block_globalILm1024ENS0_22random_access_iteratorINS0_11WorkStorageINS_6policy9workgroup32constant_stride_array_of_objectsEN8rajaperf23RAJAPoolAllocatorHolderINS_13basic_mempool7MemPoolINS_3hip15PinnedAllocatorEEEE9AllocatorIcEENS0_10DispatcherILN4camp9resources2v18PlatformE8ENS5_34indirect_virtual_function_dispatchENS4_3hip8hip_workILm1024ELb1EEEJEEEE19const_iterator_baseEEENS0_10WorkStructILm16ESQ_EElJEEEvT0_DpT3_.uses_flat_scratch, 1), 1, 0), max(totalnumvgprs(_ZN4RAJA6detail28hip_unordered_y_block_globalILm1024ENS0_22random_access_iteratorINS0_11WorkStorageINS_6policy9workgroup32constant_stride_array_of_objectsEN8rajaperf23RAJAPoolAllocatorHolderINS_13basic_mempool7MemPoolINS_3hip15PinnedAllocatorEEEE9AllocatorIcEENS0_10DispatcherILN4camp9resources2v18PlatformE8ENS5_34indirect_virtual_function_dispatchENS4_3hip8hip_workILm1024ELb1EEEJEEEE19const_iterator_baseEEENS0_10WorkStructILm16ESQ_EElJEEEvT0_DpT3_.num_agpr, _ZN4RAJA6detail28hip_unordered_y_block_globalILm1024ENS0_22random_access_iteratorINS0_11WorkStorageINS_6policy9workgroup32constant_stride_array_of_objectsEN8rajaperf23RAJAPoolAllocatorHolderINS_13basic_mempool7MemPoolINS_3hip15PinnedAllocatorEEEE9AllocatorIcEENS0_10DispatcherILN4camp9resources2v18PlatformE8ENS5_34indirect_virtual_function_dispatchENS4_3hip8hip_workILm1024ELb1EEEJEEEE19const_iterator_baseEEENS0_10WorkStructILm16ESQ_EElJEEEvT0_DpT3_.num_vgpr), 1, 0))
; WaveLimiterHint : 0
; COMPUTE_PGM_RSRC2:SCRATCH_EN: 1
; COMPUTE_PGM_RSRC2:USER_SGPR: 8
; COMPUTE_PGM_RSRC2:TRAP_HANDLER: 0
; COMPUTE_PGM_RSRC2:TGID_X_EN: 1
; COMPUTE_PGM_RSRC2:TGID_Y_EN: 1
; COMPUTE_PGM_RSRC2:TGID_Z_EN: 1
; COMPUTE_PGM_RSRC2:TIDIG_COMP_CNT: 2
	.section	.text._ZN4RAJA6detail3hip16get_value_globalINS0_10DispatcherILN4camp9resources2v18PlatformE8ENS_6policy9workgroup34indirect_virtual_function_dispatchENS8_3hip8hip_workILm1024ELb1EEEJEE21DeviceImplTypeFactoryINS0_29HoldHipDeviceXThreadblockLoopINS_17TypedRangeSegmentIllEEN8rajaperf4comm9HALO_base8UnPackerElJEEEEEEEvPNT_10value_typeESP_,"axG",@progbits,_ZN4RAJA6detail3hip16get_value_globalINS0_10DispatcherILN4camp9resources2v18PlatformE8ENS_6policy9workgroup34indirect_virtual_function_dispatchENS8_3hip8hip_workILm1024ELb1EEEJEE21DeviceImplTypeFactoryINS0_29HoldHipDeviceXThreadblockLoopINS_17TypedRangeSegmentIllEEN8rajaperf4comm9HALO_base8UnPackerElJEEEEEEEvPNT_10value_typeESP_,comdat
	.protected	_ZN4RAJA6detail3hip16get_value_globalINS0_10DispatcherILN4camp9resources2v18PlatformE8ENS_6policy9workgroup34indirect_virtual_function_dispatchENS8_3hip8hip_workILm1024ELb1EEEJEE21DeviceImplTypeFactoryINS0_29HoldHipDeviceXThreadblockLoopINS_17TypedRangeSegmentIllEEN8rajaperf4comm9HALO_base8UnPackerElJEEEEEEEvPNT_10value_typeESP_ ; -- Begin function _ZN4RAJA6detail3hip16get_value_globalINS0_10DispatcherILN4camp9resources2v18PlatformE8ENS_6policy9workgroup34indirect_virtual_function_dispatchENS8_3hip8hip_workILm1024ELb1EEEJEE21DeviceImplTypeFactoryINS0_29HoldHipDeviceXThreadblockLoopINS_17TypedRangeSegmentIllEEN8rajaperf4comm9HALO_base8UnPackerElJEEEEEEEvPNT_10value_typeESP_
	.globl	_ZN4RAJA6detail3hip16get_value_globalINS0_10DispatcherILN4camp9resources2v18PlatformE8ENS_6policy9workgroup34indirect_virtual_function_dispatchENS8_3hip8hip_workILm1024ELb1EEEJEE21DeviceImplTypeFactoryINS0_29HoldHipDeviceXThreadblockLoopINS_17TypedRangeSegmentIllEEN8rajaperf4comm9HALO_base8UnPackerElJEEEEEEEvPNT_10value_typeESP_
	.p2align	8
	.type	_ZN4RAJA6detail3hip16get_value_globalINS0_10DispatcherILN4camp9resources2v18PlatformE8ENS_6policy9workgroup34indirect_virtual_function_dispatchENS8_3hip8hip_workILm1024ELb1EEEJEE21DeviceImplTypeFactoryINS0_29HoldHipDeviceXThreadblockLoopINS_17TypedRangeSegmentIllEEN8rajaperf4comm9HALO_base8UnPackerElJEEEEEEEvPNT_10value_typeESP_,@function
_ZN4RAJA6detail3hip16get_value_globalINS0_10DispatcherILN4camp9resources2v18PlatformE8ENS_6policy9workgroup34indirect_virtual_function_dispatchENS8_3hip8hip_workILm1024ELb1EEEJEE21DeviceImplTypeFactoryINS0_29HoldHipDeviceXThreadblockLoopINS_17TypedRangeSegmentIllEEN8rajaperf4comm9HALO_base8UnPackerElJEEEEEEEvPNT_10value_typeESP_: ; @_ZN4RAJA6detail3hip16get_value_globalINS0_10DispatcherILN4camp9resources2v18PlatformE8ENS_6policy9workgroup34indirect_virtual_function_dispatchENS8_3hip8hip_workILm1024ELb1EEEJEE21DeviceImplTypeFactoryINS0_29HoldHipDeviceXThreadblockLoopINS_17TypedRangeSegmentIllEEN8rajaperf4comm9HALO_base8UnPackerElJEEEEEEEvPNT_10value_typeESP_
; %bb.0:
	s_load_b64 s[0:1], s[0:1], 0x0
	s_get_pc_i64 s[2:3]
	s_add_nc_u64 s[2:3], s[2:3], _ZZN4RAJA6detail10DispatcherILN4camp9resources2v18PlatformE8ENS_6policy9workgroup34indirect_virtual_function_dispatchENS6_3hip8hip_workILm1024ELb1EEEJEE21DeviceImplTypeFactoryINS0_29HoldHipDeviceXThreadblockLoopINS_17TypedRangeSegmentIllEEN8rajaperf4comm9HALO_base8UnPackerElJEEEEclEvE13s_device_impl@rel64+4
	v_mov_b32_e32 v2, 0
	v_mov_b64_e32 v[0:1], s[2:3]
	s_wait_kmcnt 0x0
	global_store_b64 v2, v[0:1], s[0:1]
	s_endpgm
	.section	.rodata,"a",@progbits
	.p2align	6, 0x0
	.amdhsa_kernel _ZN4RAJA6detail3hip16get_value_globalINS0_10DispatcherILN4camp9resources2v18PlatformE8ENS_6policy9workgroup34indirect_virtual_function_dispatchENS8_3hip8hip_workILm1024ELb1EEEJEE21DeviceImplTypeFactoryINS0_29HoldHipDeviceXThreadblockLoopINS_17TypedRangeSegmentIllEEN8rajaperf4comm9HALO_base8UnPackerElJEEEEEEEvPNT_10value_typeESP_
		.amdhsa_group_segment_fixed_size 0
		.amdhsa_private_segment_fixed_size 0
		.amdhsa_kernarg_size 12
		.amdhsa_user_sgpr_count 2
		.amdhsa_user_sgpr_dispatch_ptr 0
		.amdhsa_user_sgpr_queue_ptr 0
		.amdhsa_user_sgpr_kernarg_segment_ptr 1
		.amdhsa_user_sgpr_dispatch_id 0
		.amdhsa_user_sgpr_kernarg_preload_length 0
		.amdhsa_user_sgpr_kernarg_preload_offset 0
		.amdhsa_user_sgpr_private_segment_size 0
		.amdhsa_wavefront_size32 1
		.amdhsa_uses_dynamic_stack 0
		.amdhsa_enable_private_segment 0
		.amdhsa_system_sgpr_workgroup_id_x 1
		.amdhsa_system_sgpr_workgroup_id_y 0
		.amdhsa_system_sgpr_workgroup_id_z 0
		.amdhsa_system_sgpr_workgroup_info 0
		.amdhsa_system_vgpr_workitem_id 0
		.amdhsa_next_free_vgpr 3
		.amdhsa_next_free_sgpr 4
		.amdhsa_named_barrier_count 0
		.amdhsa_reserve_vcc 0
		.amdhsa_float_round_mode_32 0
		.amdhsa_float_round_mode_16_64 0
		.amdhsa_float_denorm_mode_32 3
		.amdhsa_float_denorm_mode_16_64 3
		.amdhsa_fp16_overflow 0
		.amdhsa_memory_ordered 1
		.amdhsa_forward_progress 1
		.amdhsa_inst_pref_size 1
		.amdhsa_round_robin_scheduling 0
		.amdhsa_exception_fp_ieee_invalid_op 0
		.amdhsa_exception_fp_denorm_src 0
		.amdhsa_exception_fp_ieee_div_zero 0
		.amdhsa_exception_fp_ieee_overflow 0
		.amdhsa_exception_fp_ieee_underflow 0
		.amdhsa_exception_fp_ieee_inexact 0
		.amdhsa_exception_int_div_zero 0
	.end_amdhsa_kernel
	.section	.text._ZN4RAJA6detail3hip16get_value_globalINS0_10DispatcherILN4camp9resources2v18PlatformE8ENS_6policy9workgroup34indirect_virtual_function_dispatchENS8_3hip8hip_workILm1024ELb1EEEJEE21DeviceImplTypeFactoryINS0_29HoldHipDeviceXThreadblockLoopINS_17TypedRangeSegmentIllEEN8rajaperf4comm9HALO_base8UnPackerElJEEEEEEEvPNT_10value_typeESP_,"axG",@progbits,_ZN4RAJA6detail3hip16get_value_globalINS0_10DispatcherILN4camp9resources2v18PlatformE8ENS_6policy9workgroup34indirect_virtual_function_dispatchENS8_3hip8hip_workILm1024ELb1EEEJEE21DeviceImplTypeFactoryINS0_29HoldHipDeviceXThreadblockLoopINS_17TypedRangeSegmentIllEEN8rajaperf4comm9HALO_base8UnPackerElJEEEEEEEvPNT_10value_typeESP_,comdat
.Lfunc_end11:
	.size	_ZN4RAJA6detail3hip16get_value_globalINS0_10DispatcherILN4camp9resources2v18PlatformE8ENS_6policy9workgroup34indirect_virtual_function_dispatchENS8_3hip8hip_workILm1024ELb1EEEJEE21DeviceImplTypeFactoryINS0_29HoldHipDeviceXThreadblockLoopINS_17TypedRangeSegmentIllEEN8rajaperf4comm9HALO_base8UnPackerElJEEEEEEEvPNT_10value_typeESP_, .Lfunc_end11-_ZN4RAJA6detail3hip16get_value_globalINS0_10DispatcherILN4camp9resources2v18PlatformE8ENS_6policy9workgroup34indirect_virtual_function_dispatchENS8_3hip8hip_workILm1024ELb1EEEJEE21DeviceImplTypeFactoryINS0_29HoldHipDeviceXThreadblockLoopINS_17TypedRangeSegmentIllEEN8rajaperf4comm9HALO_base8UnPackerElJEEEEEEEvPNT_10value_typeESP_
                                        ; -- End function
	.set _ZN4RAJA6detail3hip16get_value_globalINS0_10DispatcherILN4camp9resources2v18PlatformE8ENS_6policy9workgroup34indirect_virtual_function_dispatchENS8_3hip8hip_workILm1024ELb1EEEJEE21DeviceImplTypeFactoryINS0_29HoldHipDeviceXThreadblockLoopINS_17TypedRangeSegmentIllEEN8rajaperf4comm9HALO_base8UnPackerElJEEEEEEEvPNT_10value_typeESP_.num_vgpr, 3
	.set _ZN4RAJA6detail3hip16get_value_globalINS0_10DispatcherILN4camp9resources2v18PlatformE8ENS_6policy9workgroup34indirect_virtual_function_dispatchENS8_3hip8hip_workILm1024ELb1EEEJEE21DeviceImplTypeFactoryINS0_29HoldHipDeviceXThreadblockLoopINS_17TypedRangeSegmentIllEEN8rajaperf4comm9HALO_base8UnPackerElJEEEEEEEvPNT_10value_typeESP_.num_agpr, 0
	.set _ZN4RAJA6detail3hip16get_value_globalINS0_10DispatcherILN4camp9resources2v18PlatformE8ENS_6policy9workgroup34indirect_virtual_function_dispatchENS8_3hip8hip_workILm1024ELb1EEEJEE21DeviceImplTypeFactoryINS0_29HoldHipDeviceXThreadblockLoopINS_17TypedRangeSegmentIllEEN8rajaperf4comm9HALO_base8UnPackerElJEEEEEEEvPNT_10value_typeESP_.numbered_sgpr, 4
	.set _ZN4RAJA6detail3hip16get_value_globalINS0_10DispatcherILN4camp9resources2v18PlatformE8ENS_6policy9workgroup34indirect_virtual_function_dispatchENS8_3hip8hip_workILm1024ELb1EEEJEE21DeviceImplTypeFactoryINS0_29HoldHipDeviceXThreadblockLoopINS_17TypedRangeSegmentIllEEN8rajaperf4comm9HALO_base8UnPackerElJEEEEEEEvPNT_10value_typeESP_.num_named_barrier, 0
	.set _ZN4RAJA6detail3hip16get_value_globalINS0_10DispatcherILN4camp9resources2v18PlatformE8ENS_6policy9workgroup34indirect_virtual_function_dispatchENS8_3hip8hip_workILm1024ELb1EEEJEE21DeviceImplTypeFactoryINS0_29HoldHipDeviceXThreadblockLoopINS_17TypedRangeSegmentIllEEN8rajaperf4comm9HALO_base8UnPackerElJEEEEEEEvPNT_10value_typeESP_.private_seg_size, 0
	.set _ZN4RAJA6detail3hip16get_value_globalINS0_10DispatcherILN4camp9resources2v18PlatformE8ENS_6policy9workgroup34indirect_virtual_function_dispatchENS8_3hip8hip_workILm1024ELb1EEEJEE21DeviceImplTypeFactoryINS0_29HoldHipDeviceXThreadblockLoopINS_17TypedRangeSegmentIllEEN8rajaperf4comm9HALO_base8UnPackerElJEEEEEEEvPNT_10value_typeESP_.uses_vcc, 0
	.set _ZN4RAJA6detail3hip16get_value_globalINS0_10DispatcherILN4camp9resources2v18PlatformE8ENS_6policy9workgroup34indirect_virtual_function_dispatchENS8_3hip8hip_workILm1024ELb1EEEJEE21DeviceImplTypeFactoryINS0_29HoldHipDeviceXThreadblockLoopINS_17TypedRangeSegmentIllEEN8rajaperf4comm9HALO_base8UnPackerElJEEEEEEEvPNT_10value_typeESP_.uses_flat_scratch, 0
	.set _ZN4RAJA6detail3hip16get_value_globalINS0_10DispatcherILN4camp9resources2v18PlatformE8ENS_6policy9workgroup34indirect_virtual_function_dispatchENS8_3hip8hip_workILm1024ELb1EEEJEE21DeviceImplTypeFactoryINS0_29HoldHipDeviceXThreadblockLoopINS_17TypedRangeSegmentIllEEN8rajaperf4comm9HALO_base8UnPackerElJEEEEEEEvPNT_10value_typeESP_.has_dyn_sized_stack, 0
	.set _ZN4RAJA6detail3hip16get_value_globalINS0_10DispatcherILN4camp9resources2v18PlatformE8ENS_6policy9workgroup34indirect_virtual_function_dispatchENS8_3hip8hip_workILm1024ELb1EEEJEE21DeviceImplTypeFactoryINS0_29HoldHipDeviceXThreadblockLoopINS_17TypedRangeSegmentIllEEN8rajaperf4comm9HALO_base8UnPackerElJEEEEEEEvPNT_10value_typeESP_.has_recursion, 0
	.set _ZN4RAJA6detail3hip16get_value_globalINS0_10DispatcherILN4camp9resources2v18PlatformE8ENS_6policy9workgroup34indirect_virtual_function_dispatchENS8_3hip8hip_workILm1024ELb1EEEJEE21DeviceImplTypeFactoryINS0_29HoldHipDeviceXThreadblockLoopINS_17TypedRangeSegmentIllEEN8rajaperf4comm9HALO_base8UnPackerElJEEEEEEEvPNT_10value_typeESP_.has_indirect_call, 0
	.section	.AMDGPU.csdata,"",@progbits
; Kernel info:
; codeLenInByte = 52
; TotalNumSgprs: 4
; NumVgprs: 3
; ScratchSize: 0
; MemoryBound: 0
; FloatMode: 240
; IeeeMode: 1
; LDSByteSize: 0 bytes/workgroup (compile time only)
; SGPRBlocks: 0
; VGPRBlocks: 0
; NumSGPRsForWavesPerEU: 4
; NumVGPRsForWavesPerEU: 3
; NamedBarCnt: 0
; Occupancy: 16
; WaveLimiterHint : 0
; COMPUTE_PGM_RSRC2:SCRATCH_EN: 0
; COMPUTE_PGM_RSRC2:USER_SGPR: 2
; COMPUTE_PGM_RSRC2:TRAP_HANDLER: 0
; COMPUTE_PGM_RSRC2:TGID_X_EN: 1
; COMPUTE_PGM_RSRC2:TGID_Y_EN: 0
; COMPUTE_PGM_RSRC2:TGID_Z_EN: 0
; COMPUTE_PGM_RSRC2:TIDIG_COMP_CNT: 0
	.text
	.p2align	2                               ; -- Begin function _ZNK4RAJA6detail10DispatcherILN4camp9resources2v18PlatformE8ENS_6policy9workgroup34indirect_virtual_function_dispatchENS6_3hip8hip_workILm1024ELb1EEEJEE16device_impl_typeINS0_29HoldHipDeviceXThreadblockLoopINS_17TypedRangeSegmentIllEEN8rajaperf4comm9HALO_base8UnPackerElJEEEE6invokeENS0_29DispatcherVoidConstPtrWrapperISB_EE
	.type	_ZNK4RAJA6detail10DispatcherILN4camp9resources2v18PlatformE8ENS_6policy9workgroup34indirect_virtual_function_dispatchENS6_3hip8hip_workILm1024ELb1EEEJEE16device_impl_typeINS0_29HoldHipDeviceXThreadblockLoopINS_17TypedRangeSegmentIllEEN8rajaperf4comm9HALO_base8UnPackerElJEEEE6invokeENS0_29DispatcherVoidConstPtrWrapperISB_EE,@function
_ZNK4RAJA6detail10DispatcherILN4camp9resources2v18PlatformE8ENS_6policy9workgroup34indirect_virtual_function_dispatchENS6_3hip8hip_workILm1024ELb1EEEJEE16device_impl_typeINS0_29HoldHipDeviceXThreadblockLoopINS_17TypedRangeSegmentIllEEN8rajaperf4comm9HALO_base8UnPackerElJEEEE6invokeENS0_29DispatcherVoidConstPtrWrapperISB_EE: ; @_ZNK4RAJA6detail10DispatcherILN4camp9resources2v18PlatformE8ENS_6policy9workgroup34indirect_virtual_function_dispatchENS6_3hip8hip_workILm1024ELb1EEEJEE16device_impl_typeINS0_29HoldHipDeviceXThreadblockLoopINS_17TypedRangeSegmentIllEEN8rajaperf4comm9HALO_base8UnPackerElJEEEE6invokeENS0_29DispatcherVoidConstPtrWrapperISB_EE
; %bb.0:
	s_wait_loadcnt_dscnt 0x0
	s_wait_kmcnt 0x0
	flat_load_b128 v[4:7], v[2:3]
	s_load_b32 s2, s[8:9], 0x0
	s_bfe_u32 s0, ttmp6, 0x4000c
	s_and_b32 s1, ttmp6, 15
	s_add_co_i32 s0, s0, 1
	s_getreg_b32 s3, hwreg(HW_REG_IB_STS2, 6, 4)
	s_mul_i32 s0, ttmp9, s0
	v_and_b32_e32 v0, 0x3ff, v31
	s_add_co_i32 s1, s1, s0
	s_cmp_eq_u32 s3, 0
	v_mov_b32_e32 v1, 0
	s_cselect_b32 s3, ttmp9, s1
	s_mov_b32 s1, 0
	s_mov_b32 s6, exec_lo
	s_wait_kmcnt 0x0
	s_cmp_lt_u32 s3, s2
	s_cselect_b32 s0, 12, 18
	s_delay_alu instid0(SALU_CYCLE_1)
	s_add_nc_u64 s[4:5], s[8:9], s[0:1]
	s_load_u16 s0, s[4:5], 0x0
	s_wait_kmcnt 0x0
	v_mad_u32 v0, s3, s0, v0
	s_wait_loadcnt_dscnt 0x0
	v_sub_nc_u64_e32 v[10:11], v[6:7], v[4:5]
	s_delay_alu instid0(VALU_DEP_1)
	v_cmpx_gt_i64_e64 v[10:11], v[0:1]
	s_cbranch_execz .LBB12_3
; %bb.1:
	s_clause 0x1
	flat_load_b64 v[12:13], v[2:3] offset:32
	flat_load_b128 v[6:9], v[2:3] offset:16
	s_load_u16 s3, s[8:9], 0x12
	v_add_nc_u64_e32 v[4:5], v[4:5], v[0:1]
	s_mov_b32 s7, s1
	s_wait_kmcnt 0x0
	s_cmp_lg_u32 s3, 0
	s_cselect_b32 s3, -1, 0
	s_delay_alu instid0(SALU_CYCLE_1) | instskip(SKIP_1) | instid1(SALU_CYCLE_1)
	s_cmp_lg_u32 s3, 0
	s_add_co_ci_u32 s2, s2, 0
	s_mul_i32 s0, s2, s0
	s_delay_alu instid0(SALU_CYCLE_1)
	s_lshl_b64 s[2:3], s[0:1], 2
	s_lshl_b64 s[4:5], s[0:1], 3
	s_wait_loadcnt_dscnt 0x101
	v_lshl_add_u64 v[2:3], v[4:5], 2, v[12:13]
	s_wait_loadcnt_dscnt 0x0
	v_lshl_add_u64 v[4:5], v[4:5], 3, v[6:7]
.LBB12_2:                               ; =>This Inner Loop Header: Depth=1
	flat_load_b32 v6, v[2:3]
	flat_load_b64 v[12:13], v[4:5]
	v_add_nc_u64_e32 v[0:1], s[0:1], v[0:1]
	s_wait_xcnt 0x1
	v_add_nc_u64_e32 v[2:3], s[2:3], v[2:3]
	s_wait_xcnt 0x0
	v_add_nc_u64_e32 v[4:5], s[4:5], v[4:5]
	s_delay_alu instid0(VALU_DEP_3) | instskip(SKIP_3) | instid1(VALU_DEP_1)
	v_cmp_ge_i64_e32 vcc_lo, v[0:1], v[10:11]
	s_or_b32 s7, vcc_lo, s7
	s_wait_loadcnt_dscnt 0x101
	v_ashrrev_i32_e32 v7, 31, v6
	v_lshl_add_u64 v[6:7], v[6:7], 3, v[8:9]
	s_wait_loadcnt_dscnt 0x0
	flat_store_b64 v[6:7], v[12:13]
	s_wait_xcnt 0x0
	s_and_not1_b32 exec_lo, exec_lo, s7
	s_cbranch_execnz .LBB12_2
.LBB12_3:
	s_or_b32 exec_lo, exec_lo, s6
	s_wait_dscnt 0x0
	s_set_pc_i64 s[30:31]
.Lfunc_end12:
	.size	_ZNK4RAJA6detail10DispatcherILN4camp9resources2v18PlatformE8ENS_6policy9workgroup34indirect_virtual_function_dispatchENS6_3hip8hip_workILm1024ELb1EEEJEE16device_impl_typeINS0_29HoldHipDeviceXThreadblockLoopINS_17TypedRangeSegmentIllEEN8rajaperf4comm9HALO_base8UnPackerElJEEEE6invokeENS0_29DispatcherVoidConstPtrWrapperISB_EE, .Lfunc_end12-_ZNK4RAJA6detail10DispatcherILN4camp9resources2v18PlatformE8ENS_6policy9workgroup34indirect_virtual_function_dispatchENS6_3hip8hip_workILm1024ELb1EEEJEE16device_impl_typeINS0_29HoldHipDeviceXThreadblockLoopINS_17TypedRangeSegmentIllEEN8rajaperf4comm9HALO_base8UnPackerElJEEEE6invokeENS0_29DispatcherVoidConstPtrWrapperISB_EE
                                        ; -- End function
	.set .L_ZNK4RAJA6detail10DispatcherILN4camp9resources2v18PlatformE8ENS_6policy9workgroup34indirect_virtual_function_dispatchENS6_3hip8hip_workILm1024ELb1EEEJEE16device_impl_typeINS0_29HoldHipDeviceXThreadblockLoopINS_17TypedRangeSegmentIllEEN8rajaperf4comm9HALO_base8UnPackerElJEEEE6invokeENS0_29DispatcherVoidConstPtrWrapperISB_EE.num_vgpr, 32
	.set .L_ZNK4RAJA6detail10DispatcherILN4camp9resources2v18PlatformE8ENS_6policy9workgroup34indirect_virtual_function_dispatchENS6_3hip8hip_workILm1024ELb1EEEJEE16device_impl_typeINS0_29HoldHipDeviceXThreadblockLoopINS_17TypedRangeSegmentIllEEN8rajaperf4comm9HALO_base8UnPackerElJEEEE6invokeENS0_29DispatcherVoidConstPtrWrapperISB_EE.num_agpr, 0
	.set .L_ZNK4RAJA6detail10DispatcherILN4camp9resources2v18PlatformE8ENS_6policy9workgroup34indirect_virtual_function_dispatchENS6_3hip8hip_workILm1024ELb1EEEJEE16device_impl_typeINS0_29HoldHipDeviceXThreadblockLoopINS_17TypedRangeSegmentIllEEN8rajaperf4comm9HALO_base8UnPackerElJEEEE6invokeENS0_29DispatcherVoidConstPtrWrapperISB_EE.numbered_sgpr, 32
	.set .L_ZNK4RAJA6detail10DispatcherILN4camp9resources2v18PlatformE8ENS_6policy9workgroup34indirect_virtual_function_dispatchENS6_3hip8hip_workILm1024ELb1EEEJEE16device_impl_typeINS0_29HoldHipDeviceXThreadblockLoopINS_17TypedRangeSegmentIllEEN8rajaperf4comm9HALO_base8UnPackerElJEEEE6invokeENS0_29DispatcherVoidConstPtrWrapperISB_EE.num_named_barrier, 0
	.set .L_ZNK4RAJA6detail10DispatcherILN4camp9resources2v18PlatformE8ENS_6policy9workgroup34indirect_virtual_function_dispatchENS6_3hip8hip_workILm1024ELb1EEEJEE16device_impl_typeINS0_29HoldHipDeviceXThreadblockLoopINS_17TypedRangeSegmentIllEEN8rajaperf4comm9HALO_base8UnPackerElJEEEE6invokeENS0_29DispatcherVoidConstPtrWrapperISB_EE.private_seg_size, 0
	.set .L_ZNK4RAJA6detail10DispatcherILN4camp9resources2v18PlatformE8ENS_6policy9workgroup34indirect_virtual_function_dispatchENS6_3hip8hip_workILm1024ELb1EEEJEE16device_impl_typeINS0_29HoldHipDeviceXThreadblockLoopINS_17TypedRangeSegmentIllEEN8rajaperf4comm9HALO_base8UnPackerElJEEEE6invokeENS0_29DispatcherVoidConstPtrWrapperISB_EE.uses_vcc, 1
	.set .L_ZNK4RAJA6detail10DispatcherILN4camp9resources2v18PlatformE8ENS_6policy9workgroup34indirect_virtual_function_dispatchENS6_3hip8hip_workILm1024ELb1EEEJEE16device_impl_typeINS0_29HoldHipDeviceXThreadblockLoopINS_17TypedRangeSegmentIllEEN8rajaperf4comm9HALO_base8UnPackerElJEEEE6invokeENS0_29DispatcherVoidConstPtrWrapperISB_EE.uses_flat_scratch, 1
	.set .L_ZNK4RAJA6detail10DispatcherILN4camp9resources2v18PlatformE8ENS_6policy9workgroup34indirect_virtual_function_dispatchENS6_3hip8hip_workILm1024ELb1EEEJEE16device_impl_typeINS0_29HoldHipDeviceXThreadblockLoopINS_17TypedRangeSegmentIllEEN8rajaperf4comm9HALO_base8UnPackerElJEEEE6invokeENS0_29DispatcherVoidConstPtrWrapperISB_EE.has_dyn_sized_stack, 0
	.set .L_ZNK4RAJA6detail10DispatcherILN4camp9resources2v18PlatformE8ENS_6policy9workgroup34indirect_virtual_function_dispatchENS6_3hip8hip_workILm1024ELb1EEEJEE16device_impl_typeINS0_29HoldHipDeviceXThreadblockLoopINS_17TypedRangeSegmentIllEEN8rajaperf4comm9HALO_base8UnPackerElJEEEE6invokeENS0_29DispatcherVoidConstPtrWrapperISB_EE.has_recursion, 0
	.set .L_ZNK4RAJA6detail10DispatcherILN4camp9resources2v18PlatformE8ENS_6policy9workgroup34indirect_virtual_function_dispatchENS6_3hip8hip_workILm1024ELb1EEEJEE16device_impl_typeINS0_29HoldHipDeviceXThreadblockLoopINS_17TypedRangeSegmentIllEEN8rajaperf4comm9HALO_base8UnPackerElJEEEE6invokeENS0_29DispatcherVoidConstPtrWrapperISB_EE.has_indirect_call, 0
	.section	.AMDGPU.csdata,"",@progbits
; Function info:
; codeLenInByte = 368
; TotalNumSgprs: 34
; NumVgprs: 32
; ScratchSize: 0
; MemoryBound: 0
	.text
	.p2alignl 7, 3214868480
	.fill 96, 4, 3214868480
	.section	.AMDGPU.gpr_maximums,"",@progbits
	.set amdgpu.max_num_vgpr, 32
	.set amdgpu.max_num_agpr, 0
	.set amdgpu.max_num_sgpr, 32
	.text
	.hidden	_ZZN4RAJA6detail10DispatcherILN4camp9resources2v18PlatformE8ENS_6policy9workgroup34indirect_virtual_function_dispatchENS6_3hip8hip_workILm1024ELb1EEEJEE21DeviceImplTypeFactoryINS0_29HoldHipDeviceXThreadblockLoopINS_17TypedRangeSegmentIllEEN8rajaperf4comm9HALO_base6PackerElJEEEEclEvE13s_device_impl ; @_ZZN4RAJA6detail10DispatcherILN4camp9resources2v18PlatformE8ENS_6policy9workgroup34indirect_virtual_function_dispatchENS6_3hip8hip_workILm1024ELb1EEEJEE21DeviceImplTypeFactoryINS0_29HoldHipDeviceXThreadblockLoopINS_17TypedRangeSegmentIllEEN8rajaperf4comm9HALO_base6PackerElJEEEEclEvE13s_device_impl
	.type	_ZZN4RAJA6detail10DispatcherILN4camp9resources2v18PlatformE8ENS_6policy9workgroup34indirect_virtual_function_dispatchENS6_3hip8hip_workILm1024ELb1EEEJEE21DeviceImplTypeFactoryINS0_29HoldHipDeviceXThreadblockLoopINS_17TypedRangeSegmentIllEEN8rajaperf4comm9HALO_base6PackerElJEEEEclEvE13s_device_impl,@object
	.section	.data._ZZN4RAJA6detail10DispatcherILN4camp9resources2v18PlatformE8ENS_6policy9workgroup34indirect_virtual_function_dispatchENS6_3hip8hip_workILm1024ELb1EEEJEE21DeviceImplTypeFactoryINS0_29HoldHipDeviceXThreadblockLoopINS_17TypedRangeSegmentIllEEN8rajaperf4comm9HALO_base6PackerElJEEEEclEvE13s_device_impl,"awG",@progbits,_ZZN4RAJA6detail10DispatcherILN4camp9resources2v18PlatformE8ENS_6policy9workgroup34indirect_virtual_function_dispatchENS6_3hip8hip_workILm1024ELb1EEEJEE21DeviceImplTypeFactoryINS0_29HoldHipDeviceXThreadblockLoopINS_17TypedRangeSegmentIllEEN8rajaperf4comm9HALO_base6PackerElJEEEEclEvE13s_device_impl,comdat
	.weak	_ZZN4RAJA6detail10DispatcherILN4camp9resources2v18PlatformE8ENS_6policy9workgroup34indirect_virtual_function_dispatchENS6_3hip8hip_workILm1024ELb1EEEJEE21DeviceImplTypeFactoryINS0_29HoldHipDeviceXThreadblockLoopINS_17TypedRangeSegmentIllEEN8rajaperf4comm9HALO_base6PackerElJEEEEclEvE13s_device_impl
	.p2align	3, 0x0
_ZZN4RAJA6detail10DispatcherILN4camp9resources2v18PlatformE8ENS_6policy9workgroup34indirect_virtual_function_dispatchENS6_3hip8hip_workILm1024ELb1EEEJEE21DeviceImplTypeFactoryINS0_29HoldHipDeviceXThreadblockLoopINS_17TypedRangeSegmentIllEEN8rajaperf4comm9HALO_base6PackerElJEEEEclEvE13s_device_impl:
	.quad	_ZTVN4RAJA6detail10DispatcherILN4camp9resources2v18PlatformE8ENS_6policy9workgroup34indirect_virtual_function_dispatchENS6_3hip8hip_workILm1024ELb1EEEJEE16device_impl_typeINS0_29HoldHipDeviceXThreadblockLoopINS_17TypedRangeSegmentIllEEN8rajaperf4comm9HALO_base6PackerElJEEEEE+16
	.size	_ZZN4RAJA6detail10DispatcherILN4camp9resources2v18PlatformE8ENS_6policy9workgroup34indirect_virtual_function_dispatchENS6_3hip8hip_workILm1024ELb1EEEJEE21DeviceImplTypeFactoryINS0_29HoldHipDeviceXThreadblockLoopINS_17TypedRangeSegmentIllEEN8rajaperf4comm9HALO_base6PackerElJEEEEclEvE13s_device_impl, 8

	.hidden	_ZTVN4RAJA6detail10DispatcherILN4camp9resources2v18PlatformE8ENS_6policy9workgroup34indirect_virtual_function_dispatchENS6_3hip8hip_workILm1024ELb1EEEJEE16device_impl_typeINS0_29HoldHipDeviceXThreadblockLoopINS_17TypedRangeSegmentIllEEN8rajaperf4comm9HALO_base6PackerElJEEEEE ; @_ZTVN4RAJA6detail10DispatcherILN4camp9resources2v18PlatformE8ENS_6policy9workgroup34indirect_virtual_function_dispatchENS6_3hip8hip_workILm1024ELb1EEEJEE16device_impl_typeINS0_29HoldHipDeviceXThreadblockLoopINS_17TypedRangeSegmentIllEEN8rajaperf4comm9HALO_base6PackerElJEEEEE
	.type	_ZTVN4RAJA6detail10DispatcherILN4camp9resources2v18PlatformE8ENS_6policy9workgroup34indirect_virtual_function_dispatchENS6_3hip8hip_workILm1024ELb1EEEJEE16device_impl_typeINS0_29HoldHipDeviceXThreadblockLoopINS_17TypedRangeSegmentIllEEN8rajaperf4comm9HALO_base6PackerElJEEEEE,@object
	.section	.data.rel.ro._ZTVN4RAJA6detail10DispatcherILN4camp9resources2v18PlatformE8ENS_6policy9workgroup34indirect_virtual_function_dispatchENS6_3hip8hip_workILm1024ELb1EEEJEE16device_impl_typeINS0_29HoldHipDeviceXThreadblockLoopINS_17TypedRangeSegmentIllEEN8rajaperf4comm9HALO_base6PackerElJEEEEE,"awG",@progbits,_ZTVN4RAJA6detail10DispatcherILN4camp9resources2v18PlatformE8ENS_6policy9workgroup34indirect_virtual_function_dispatchENS6_3hip8hip_workILm1024ELb1EEEJEE16device_impl_typeINS0_29HoldHipDeviceXThreadblockLoopINS_17TypedRangeSegmentIllEEN8rajaperf4comm9HALO_base6PackerElJEEEEE,comdat
	.weak	_ZTVN4RAJA6detail10DispatcherILN4camp9resources2v18PlatformE8ENS_6policy9workgroup34indirect_virtual_function_dispatchENS6_3hip8hip_workILm1024ELb1EEEJEE16device_impl_typeINS0_29HoldHipDeviceXThreadblockLoopINS_17TypedRangeSegmentIllEEN8rajaperf4comm9HALO_base6PackerElJEEEEE
	.p2align	3, 0x0
_ZTVN4RAJA6detail10DispatcherILN4camp9resources2v18PlatformE8ENS_6policy9workgroup34indirect_virtual_function_dispatchENS6_3hip8hip_workILm1024ELb1EEEJEE16device_impl_typeINS0_29HoldHipDeviceXThreadblockLoopINS_17TypedRangeSegmentIllEEN8rajaperf4comm9HALO_base6PackerElJEEEEE:
	.quad	0
	.quad	0
	.quad	_ZNK4RAJA6detail10DispatcherILN4camp9resources2v18PlatformE8ENS_6policy9workgroup34indirect_virtual_function_dispatchENS6_3hip8hip_workILm1024ELb1EEEJEE16device_impl_typeINS0_29HoldHipDeviceXThreadblockLoopINS_17TypedRangeSegmentIllEEN8rajaperf4comm9HALO_base6PackerElJEEEE6invokeENS0_29DispatcherVoidConstPtrWrapperISB_EE
	.size	_ZTVN4RAJA6detail10DispatcherILN4camp9resources2v18PlatformE8ENS_6policy9workgroup34indirect_virtual_function_dispatchENS6_3hip8hip_workILm1024ELb1EEEJEE16device_impl_typeINS0_29HoldHipDeviceXThreadblockLoopINS_17TypedRangeSegmentIllEEN8rajaperf4comm9HALO_base6PackerElJEEEEE, 24

	.hidden	_ZZN4RAJA6detail10DispatcherILN4camp9resources2v18PlatformE8ENS_6policy9workgroup34indirect_virtual_function_dispatchENS6_3hip8hip_workILm1024ELb1EEEJEE21DeviceImplTypeFactoryINS0_29HoldHipDeviceXThreadblockLoopINS_17TypedRangeSegmentIllEEN8rajaperf4comm9HALO_base8UnPackerElJEEEEclEvE13s_device_impl ; @_ZZN4RAJA6detail10DispatcherILN4camp9resources2v18PlatformE8ENS_6policy9workgroup34indirect_virtual_function_dispatchENS6_3hip8hip_workILm1024ELb1EEEJEE21DeviceImplTypeFactoryINS0_29HoldHipDeviceXThreadblockLoopINS_17TypedRangeSegmentIllEEN8rajaperf4comm9HALO_base8UnPackerElJEEEEclEvE13s_device_impl
	.type	_ZZN4RAJA6detail10DispatcherILN4camp9resources2v18PlatformE8ENS_6policy9workgroup34indirect_virtual_function_dispatchENS6_3hip8hip_workILm1024ELb1EEEJEE21DeviceImplTypeFactoryINS0_29HoldHipDeviceXThreadblockLoopINS_17TypedRangeSegmentIllEEN8rajaperf4comm9HALO_base8UnPackerElJEEEEclEvE13s_device_impl,@object
	.section	.data._ZZN4RAJA6detail10DispatcherILN4camp9resources2v18PlatformE8ENS_6policy9workgroup34indirect_virtual_function_dispatchENS6_3hip8hip_workILm1024ELb1EEEJEE21DeviceImplTypeFactoryINS0_29HoldHipDeviceXThreadblockLoopINS_17TypedRangeSegmentIllEEN8rajaperf4comm9HALO_base8UnPackerElJEEEEclEvE13s_device_impl,"awG",@progbits,_ZZN4RAJA6detail10DispatcherILN4camp9resources2v18PlatformE8ENS_6policy9workgroup34indirect_virtual_function_dispatchENS6_3hip8hip_workILm1024ELb1EEEJEE21DeviceImplTypeFactoryINS0_29HoldHipDeviceXThreadblockLoopINS_17TypedRangeSegmentIllEEN8rajaperf4comm9HALO_base8UnPackerElJEEEEclEvE13s_device_impl,comdat
	.weak	_ZZN4RAJA6detail10DispatcherILN4camp9resources2v18PlatformE8ENS_6policy9workgroup34indirect_virtual_function_dispatchENS6_3hip8hip_workILm1024ELb1EEEJEE21DeviceImplTypeFactoryINS0_29HoldHipDeviceXThreadblockLoopINS_17TypedRangeSegmentIllEEN8rajaperf4comm9HALO_base8UnPackerElJEEEEclEvE13s_device_impl
	.p2align	3, 0x0
_ZZN4RAJA6detail10DispatcherILN4camp9resources2v18PlatformE8ENS_6policy9workgroup34indirect_virtual_function_dispatchENS6_3hip8hip_workILm1024ELb1EEEJEE21DeviceImplTypeFactoryINS0_29HoldHipDeviceXThreadblockLoopINS_17TypedRangeSegmentIllEEN8rajaperf4comm9HALO_base8UnPackerElJEEEEclEvE13s_device_impl:
	.quad	_ZTVN4RAJA6detail10DispatcherILN4camp9resources2v18PlatformE8ENS_6policy9workgroup34indirect_virtual_function_dispatchENS6_3hip8hip_workILm1024ELb1EEEJEE16device_impl_typeINS0_29HoldHipDeviceXThreadblockLoopINS_17TypedRangeSegmentIllEEN8rajaperf4comm9HALO_base8UnPackerElJEEEEE+16
	.size	_ZZN4RAJA6detail10DispatcherILN4camp9resources2v18PlatformE8ENS_6policy9workgroup34indirect_virtual_function_dispatchENS6_3hip8hip_workILm1024ELb1EEEJEE21DeviceImplTypeFactoryINS0_29HoldHipDeviceXThreadblockLoopINS_17TypedRangeSegmentIllEEN8rajaperf4comm9HALO_base8UnPackerElJEEEEclEvE13s_device_impl, 8

	.hidden	_ZTVN4RAJA6detail10DispatcherILN4camp9resources2v18PlatformE8ENS_6policy9workgroup34indirect_virtual_function_dispatchENS6_3hip8hip_workILm1024ELb1EEEJEE16device_impl_typeINS0_29HoldHipDeviceXThreadblockLoopINS_17TypedRangeSegmentIllEEN8rajaperf4comm9HALO_base8UnPackerElJEEEEE ; @_ZTVN4RAJA6detail10DispatcherILN4camp9resources2v18PlatformE8ENS_6policy9workgroup34indirect_virtual_function_dispatchENS6_3hip8hip_workILm1024ELb1EEEJEE16device_impl_typeINS0_29HoldHipDeviceXThreadblockLoopINS_17TypedRangeSegmentIllEEN8rajaperf4comm9HALO_base8UnPackerElJEEEEE
	.type	_ZTVN4RAJA6detail10DispatcherILN4camp9resources2v18PlatformE8ENS_6policy9workgroup34indirect_virtual_function_dispatchENS6_3hip8hip_workILm1024ELb1EEEJEE16device_impl_typeINS0_29HoldHipDeviceXThreadblockLoopINS_17TypedRangeSegmentIllEEN8rajaperf4comm9HALO_base8UnPackerElJEEEEE,@object
	.section	.data.rel.ro._ZTVN4RAJA6detail10DispatcherILN4camp9resources2v18PlatformE8ENS_6policy9workgroup34indirect_virtual_function_dispatchENS6_3hip8hip_workILm1024ELb1EEEJEE16device_impl_typeINS0_29HoldHipDeviceXThreadblockLoopINS_17TypedRangeSegmentIllEEN8rajaperf4comm9HALO_base8UnPackerElJEEEEE,"awG",@progbits,_ZTVN4RAJA6detail10DispatcherILN4camp9resources2v18PlatformE8ENS_6policy9workgroup34indirect_virtual_function_dispatchENS6_3hip8hip_workILm1024ELb1EEEJEE16device_impl_typeINS0_29HoldHipDeviceXThreadblockLoopINS_17TypedRangeSegmentIllEEN8rajaperf4comm9HALO_base8UnPackerElJEEEEE,comdat
	.weak	_ZTVN4RAJA6detail10DispatcherILN4camp9resources2v18PlatformE8ENS_6policy9workgroup34indirect_virtual_function_dispatchENS6_3hip8hip_workILm1024ELb1EEEJEE16device_impl_typeINS0_29HoldHipDeviceXThreadblockLoopINS_17TypedRangeSegmentIllEEN8rajaperf4comm9HALO_base8UnPackerElJEEEEE
	.p2align	3, 0x0
_ZTVN4RAJA6detail10DispatcherILN4camp9resources2v18PlatformE8ENS_6policy9workgroup34indirect_virtual_function_dispatchENS6_3hip8hip_workILm1024ELb1EEEJEE16device_impl_typeINS0_29HoldHipDeviceXThreadblockLoopINS_17TypedRangeSegmentIllEEN8rajaperf4comm9HALO_base8UnPackerElJEEEEE:
	.quad	0
	.quad	0
	.quad	_ZNK4RAJA6detail10DispatcherILN4camp9resources2v18PlatformE8ENS_6policy9workgroup34indirect_virtual_function_dispatchENS6_3hip8hip_workILm1024ELb1EEEJEE16device_impl_typeINS0_29HoldHipDeviceXThreadblockLoopINS_17TypedRangeSegmentIllEEN8rajaperf4comm9HALO_base8UnPackerElJEEEE6invokeENS0_29DispatcherVoidConstPtrWrapperISB_EE
	.size	_ZTVN4RAJA6detail10DispatcherILN4camp9resources2v18PlatformE8ENS_6policy9workgroup34indirect_virtual_function_dispatchENS6_3hip8hip_workILm1024ELb1EEEJEE16device_impl_typeINS0_29HoldHipDeviceXThreadblockLoopINS_17TypedRangeSegmentIllEEN8rajaperf4comm9HALO_base8UnPackerElJEEEEE, 24

	.type	__hip_cuid_faee7496a34beca0,@object ; @__hip_cuid_faee7496a34beca0
	.section	.bss,"aw",@nobits
	.globl	__hip_cuid_faee7496a34beca0
__hip_cuid_faee7496a34beca0:
	.byte	0                               ; 0x0
	.size	__hip_cuid_faee7496a34beca0, 1

	.ident	"AMD clang version 22.0.0git (https://github.com/RadeonOpenCompute/llvm-project roc-7.2.4 26084 f58b06dce1f9c15707c5f808fd002e18c2accf7e)"
	.section	".note.GNU-stack","",@progbits
	.addrsig
	.addrsig_sym _ZN4RAJA6detail10DispatcherILN4camp9resources2v18PlatformE8ENS_6policy9workgroup31indirect_function_call_dispatchENS6_3hip8hip_workILm1024ELb1EEEJEE15s_device_invokeINS0_29HoldHipDeviceXThreadblockLoopINS_17TypedRangeSegmentIllEEN8rajaperf4comm9HALO_base6PackerElJEEEEEvNS0_29DispatcherVoidConstPtrWrapperISB_EE
	.addrsig_sym _ZN4RAJA6detail10DispatcherILN4camp9resources2v18PlatformE8ENS_6policy9workgroup31indirect_function_call_dispatchENS6_3hip8hip_workILm1024ELb1EEEJEE15s_device_invokeINS0_29HoldHipDeviceXThreadblockLoopINS_17TypedRangeSegmentIllEEN8rajaperf4comm9HALO_base8UnPackerElJEEEEEvNS0_29DispatcherVoidConstPtrWrapperISB_EE
	.addrsig_sym _ZZN4RAJA6detail10DispatcherILN4camp9resources2v18PlatformE8ENS_6policy9workgroup34indirect_virtual_function_dispatchENS6_3hip8hip_workILm1024ELb1EEEJEE21DeviceImplTypeFactoryINS0_29HoldHipDeviceXThreadblockLoopINS_17TypedRangeSegmentIllEEN8rajaperf4comm9HALO_base6PackerElJEEEEclEvE13s_device_impl
	.addrsig_sym _ZZN4RAJA6detail10DispatcherILN4camp9resources2v18PlatformE8ENS_6policy9workgroup34indirect_virtual_function_dispatchENS6_3hip8hip_workILm1024ELb1EEEJEE21DeviceImplTypeFactoryINS0_29HoldHipDeviceXThreadblockLoopINS_17TypedRangeSegmentIllEEN8rajaperf4comm9HALO_base8UnPackerElJEEEEclEvE13s_device_impl
	.addrsig_sym __hip_cuid_faee7496a34beca0
	.amdgpu_metadata
---
amdhsa.kernels:
  - .args:
      - .address_space:  global
        .offset:         0
        .size:           8
        .value_kind:     global_buffer
      - .address_space:  global
        .offset:         8
        .size:           8
        .value_kind:     global_buffer
      - .address_space:  global
        .offset:         16
        .size:           8
        .value_kind:     global_buffer
      - .address_space:  global
        .offset:         24
        .size:           8
        .value_kind:     global_buffer
      - .offset:         32
        .size:           4
        .value_kind:     hidden_block_count_x
      - .offset:         36
        .size:           4
        .value_kind:     hidden_block_count_y
      - .offset:         40
        .size:           4
        .value_kind:     hidden_block_count_z
      - .offset:         44
        .size:           2
        .value_kind:     hidden_group_size_x
      - .offset:         46
        .size:           2
        .value_kind:     hidden_group_size_y
      - .offset:         48
        .size:           2
        .value_kind:     hidden_group_size_z
      - .offset:         50
        .size:           2
        .value_kind:     hidden_remainder_x
      - .offset:         52
        .size:           2
        .value_kind:     hidden_remainder_y
      - .offset:         54
        .size:           2
        .value_kind:     hidden_remainder_z
      - .offset:         72
        .size:           8
        .value_kind:     hidden_global_offset_x
      - .offset:         80
        .size:           8
        .value_kind:     hidden_global_offset_y
      - .offset:         88
        .size:           8
        .value_kind:     hidden_global_offset_z
      - .offset:         96
        .size:           2
        .value_kind:     hidden_grid_dims
    .group_segment_fixed_size: 0
    .kernarg_segment_align: 8
    .kernarg_segment_size: 288
    .language:       OpenCL C
    .language_version:
      - 2
      - 0
    .max_flat_workgroup_size: 1024
    .name:           _ZN8rajaperf4comm23halo_packing_fused_packILm1024EEEvPPdPPiS3_Pl
    .private_segment_fixed_size: 0
    .sgpr_count:     20
    .sgpr_spill_count: 0
    .symbol:         _ZN8rajaperf4comm23halo_packing_fused_packILm1024EEEvPPdPPiS3_Pl.kd
    .uniform_work_group_size: 1
    .uses_dynamic_stack: false
    .vgpr_count:     8
    .vgpr_spill_count: 0
    .wavefront_size: 32
  - .args:
      - .address_space:  global
        .offset:         0
        .size:           8
        .value_kind:     global_buffer
      - .address_space:  global
        .offset:         8
        .size:           8
        .value_kind:     global_buffer
      - .address_space:  global
        .offset:         16
        .size:           8
        .value_kind:     global_buffer
      - .address_space:  global
        .offset:         24
        .size:           8
        .value_kind:     global_buffer
      - .offset:         32
        .size:           4
        .value_kind:     hidden_block_count_x
      - .offset:         36
        .size:           4
        .value_kind:     hidden_block_count_y
      - .offset:         40
        .size:           4
        .value_kind:     hidden_block_count_z
      - .offset:         44
        .size:           2
        .value_kind:     hidden_group_size_x
      - .offset:         46
        .size:           2
        .value_kind:     hidden_group_size_y
      - .offset:         48
        .size:           2
        .value_kind:     hidden_group_size_z
      - .offset:         50
        .size:           2
        .value_kind:     hidden_remainder_x
      - .offset:         52
        .size:           2
        .value_kind:     hidden_remainder_y
      - .offset:         54
        .size:           2
        .value_kind:     hidden_remainder_z
      - .offset:         72
        .size:           8
        .value_kind:     hidden_global_offset_x
      - .offset:         80
        .size:           8
        .value_kind:     hidden_global_offset_y
      - .offset:         88
        .size:           8
        .value_kind:     hidden_global_offset_z
      - .offset:         96
        .size:           2
        .value_kind:     hidden_grid_dims
    .group_segment_fixed_size: 0
    .kernarg_segment_align: 8
    .kernarg_segment_size: 288
    .language:       OpenCL C
    .language_version:
      - 2
      - 0
    .max_flat_workgroup_size: 1024
    .name:           _ZN8rajaperf4comm25halo_packing_fused_unpackILm1024EEEvPPdPPiS3_Pl
    .private_segment_fixed_size: 0
    .sgpr_count:     20
    .sgpr_spill_count: 0
    .symbol:         _ZN8rajaperf4comm25halo_packing_fused_unpackILm1024EEEvPPdPPiS3_Pl.kd
    .uniform_work_group_size: 1
    .uses_dynamic_stack: false
    .vgpr_count:     9
    .vgpr_spill_count: 0
    .wavefront_size: 32
  - .args:
      - .offset:         0
        .size:           16
        .value_kind:     by_value
      - .offset:         16
        .size:           4
        .value_kind:     hidden_block_count_x
      - .offset:         20
        .size:           4
        .value_kind:     hidden_block_count_y
      - .offset:         24
        .size:           4
        .value_kind:     hidden_block_count_z
      - .offset:         28
        .size:           2
        .value_kind:     hidden_group_size_x
      - .offset:         30
        .size:           2
        .value_kind:     hidden_group_size_y
      - .offset:         32
        .size:           2
        .value_kind:     hidden_group_size_z
      - .offset:         34
        .size:           2
        .value_kind:     hidden_remainder_x
      - .offset:         36
        .size:           2
        .value_kind:     hidden_remainder_y
      - .offset:         38
        .size:           2
        .value_kind:     hidden_remainder_z
      - .offset:         56
        .size:           8
        .value_kind:     hidden_global_offset_x
      - .offset:         64
        .size:           8
        .value_kind:     hidden_global_offset_y
      - .offset:         72
        .size:           8
        .value_kind:     hidden_global_offset_z
      - .offset:         80
        .size:           2
        .value_kind:     hidden_grid_dims
    .group_segment_fixed_size: 0
    .kernarg_segment_align: 8
    .kernarg_segment_size: 272
    .language:       OpenCL C
    .language_version:
      - 2
      - 0
    .max_flat_workgroup_size: 1024
    .name:           _ZN4RAJA6detail28hip_unordered_y_block_globalILm1024ENS0_22random_access_iteratorINS0_11WorkStorageINS_6policy9workgroup32constant_stride_array_of_objectsEN8rajaperf23RAJAPoolAllocatorHolderINS_13basic_mempool7MemPoolINS_3hip15PinnedAllocatorEEEE9AllocatorIcEENS0_10DispatcherILN4camp9resources2v18PlatformE8ENS5_15direct_dispatchIJNS0_29HoldHipDeviceXThreadblockLoopINS_17TypedRangeSegmentIllEENS7_4comm9HALO_base6PackerElJEEENSN_ISP_NSR_8UnPackerElJEEEEEENS4_3hip8hip_workILm1024ELb1EEEJEEEE19const_iterator_baseEEENS0_10WorkStructILm16ES10_EElJEEEvT0_DpT3_
    .private_segment_fixed_size: 0
    .sgpr_count:     22
    .sgpr_spill_count: 0
    .symbol:         _ZN4RAJA6detail28hip_unordered_y_block_globalILm1024ENS0_22random_access_iteratorINS0_11WorkStorageINS_6policy9workgroup32constant_stride_array_of_objectsEN8rajaperf23RAJAPoolAllocatorHolderINS_13basic_mempool7MemPoolINS_3hip15PinnedAllocatorEEEE9AllocatorIcEENS0_10DispatcherILN4camp9resources2v18PlatformE8ENS5_15direct_dispatchIJNS0_29HoldHipDeviceXThreadblockLoopINS_17TypedRangeSegmentIllEENS7_4comm9HALO_base6PackerElJEEENSN_ISP_NSR_8UnPackerElJEEEEEENS4_3hip8hip_workILm1024ELb1EEEJEEEE19const_iterator_baseEEENS0_10WorkStructILm16ES10_EElJEEEvT0_DpT3_.kd
    .uniform_work_group_size: 1
    .uses_dynamic_stack: false
    .vgpr_count:     10
    .vgpr_spill_count: 0
    .wavefront_size: 32
  - .args:
      - .address_space:  global
        .offset:         0
        .size:           8
        .value_kind:     global_buffer
      - .offset:         8
        .size:           1
        .value_kind:     by_value
    .group_segment_fixed_size: 0
    .kernarg_segment_align: 8
    .kernarg_segment_size: 12
    .language:       OpenCL C
    .language_version:
      - 2
      - 0
    .max_flat_workgroup_size: 1024
    .name:           _ZN4RAJA6detail3hip16get_value_globalINS0_10DispatcherILN4camp9resources2v18PlatformE8ENS_6policy9workgroup31indirect_function_call_dispatchENS8_3hip8hip_workILm1024ELb1EEEJEE20DeviceInvokerFactoryINS0_29HoldHipDeviceXThreadblockLoopINS_17TypedRangeSegmentIllEEN8rajaperf4comm9HALO_base6PackerElJEEEEEEEvPNT_10value_typeESP_
    .private_segment_fixed_size: 0
    .sgpr_count:     4
    .sgpr_spill_count: 0
    .symbol:         _ZN4RAJA6detail3hip16get_value_globalINS0_10DispatcherILN4camp9resources2v18PlatformE8ENS_6policy9workgroup31indirect_function_call_dispatchENS8_3hip8hip_workILm1024ELb1EEEJEE20DeviceInvokerFactoryINS0_29HoldHipDeviceXThreadblockLoopINS_17TypedRangeSegmentIllEEN8rajaperf4comm9HALO_base6PackerElJEEEEEEEvPNT_10value_typeESP_.kd
    .uniform_work_group_size: 1
    .uses_dynamic_stack: false
    .vgpr_count:     3
    .vgpr_spill_count: 0
    .wavefront_size: 32
  - .args:
      - .offset:         0
        .size:           16
        .value_kind:     by_value
      - .offset:         16
        .size:           4
        .value_kind:     hidden_block_count_x
      - .offset:         20
        .size:           4
        .value_kind:     hidden_block_count_y
      - .offset:         24
        .size:           4
        .value_kind:     hidden_block_count_z
      - .offset:         28
        .size:           2
        .value_kind:     hidden_group_size_x
      - .offset:         30
        .size:           2
        .value_kind:     hidden_group_size_y
      - .offset:         32
        .size:           2
        .value_kind:     hidden_group_size_z
      - .offset:         34
        .size:           2
        .value_kind:     hidden_remainder_x
      - .offset:         36
        .size:           2
        .value_kind:     hidden_remainder_y
      - .offset:         38
        .size:           2
        .value_kind:     hidden_remainder_z
      - .offset:         56
        .size:           8
        .value_kind:     hidden_global_offset_x
      - .offset:         64
        .size:           8
        .value_kind:     hidden_global_offset_y
      - .offset:         72
        .size:           8
        .value_kind:     hidden_global_offset_z
      - .offset:         80
        .size:           2
        .value_kind:     hidden_grid_dims
      - .offset:         96
        .size:           8
        .value_kind:     hidden_hostcall_buffer
      - .offset:         104
        .size:           8
        .value_kind:     hidden_multigrid_sync_arg
      - .offset:         112
        .size:           8
        .value_kind:     hidden_heap_v1
      - .offset:         120
        .size:           8
        .value_kind:     hidden_default_queue
      - .offset:         128
        .size:           8
        .value_kind:     hidden_completion_action
      - .offset:         216
        .size:           8
        .value_kind:     hidden_queue_ptr
    .group_segment_fixed_size: 0
    .kernarg_segment_align: 8
    .kernarg_segment_size: 272
    .language:       OpenCL C
    .language_version:
      - 2
      - 0
    .max_flat_workgroup_size: 1024
    .name:           _ZN4RAJA6detail28hip_unordered_y_block_globalILm1024ENS0_22random_access_iteratorINS0_11WorkStorageINS_6policy9workgroup32constant_stride_array_of_objectsEN8rajaperf23RAJAPoolAllocatorHolderINS_13basic_mempool7MemPoolINS_3hip15PinnedAllocatorEEEE9AllocatorIcEENS0_10DispatcherILN4camp9resources2v18PlatformE8ENS5_31indirect_function_call_dispatchENS4_3hip8hip_workILm1024ELb1EEEJEEEE19const_iterator_baseEEENS0_10WorkStructILm16ESQ_EElJEEEvT0_DpT3_
    .private_segment_fixed_size: 0
    .sgpr_count:     35
    .sgpr_spill_count: 0
    .symbol:         _ZN4RAJA6detail28hip_unordered_y_block_globalILm1024ENS0_22random_access_iteratorINS0_11WorkStorageINS_6policy9workgroup32constant_stride_array_of_objectsEN8rajaperf23RAJAPoolAllocatorHolderINS_13basic_mempool7MemPoolINS_3hip15PinnedAllocatorEEEE9AllocatorIcEENS0_10DispatcherILN4camp9resources2v18PlatformE8ENS5_31indirect_function_call_dispatchENS4_3hip8hip_workILm1024ELb1EEEJEEEE19const_iterator_baseEEENS0_10WorkStructILm16ESQ_EElJEEEvT0_DpT3_.kd
    .uniform_work_group_size: 1
    .uses_dynamic_stack: true
    .vgpr_count:     32
    .vgpr_spill_count: 0
    .wavefront_size: 32
  - .args:
      - .address_space:  global
        .offset:         0
        .size:           8
        .value_kind:     global_buffer
      - .offset:         8
        .size:           1
        .value_kind:     by_value
    .group_segment_fixed_size: 0
    .kernarg_segment_align: 8
    .kernarg_segment_size: 12
    .language:       OpenCL C
    .language_version:
      - 2
      - 0
    .max_flat_workgroup_size: 1024
    .name:           _ZN4RAJA6detail3hip16get_value_globalINS0_10DispatcherILN4camp9resources2v18PlatformE8ENS_6policy9workgroup31indirect_function_call_dispatchENS8_3hip8hip_workILm1024ELb1EEEJEE20DeviceInvokerFactoryINS0_29HoldHipDeviceXThreadblockLoopINS_17TypedRangeSegmentIllEEN8rajaperf4comm9HALO_base8UnPackerElJEEEEEEEvPNT_10value_typeESP_
    .private_segment_fixed_size: 0
    .sgpr_count:     4
    .sgpr_spill_count: 0
    .symbol:         _ZN4RAJA6detail3hip16get_value_globalINS0_10DispatcherILN4camp9resources2v18PlatformE8ENS_6policy9workgroup31indirect_function_call_dispatchENS8_3hip8hip_workILm1024ELb1EEEJEE20DeviceInvokerFactoryINS0_29HoldHipDeviceXThreadblockLoopINS_17TypedRangeSegmentIllEEN8rajaperf4comm9HALO_base8UnPackerElJEEEEEEEvPNT_10value_typeESP_.kd
    .uniform_work_group_size: 1
    .uses_dynamic_stack: false
    .vgpr_count:     3
    .vgpr_spill_count: 0
    .wavefront_size: 32
  - .args:
      - .address_space:  global
        .offset:         0
        .size:           8
        .value_kind:     global_buffer
      - .offset:         8
        .size:           1
        .value_kind:     by_value
    .group_segment_fixed_size: 0
    .kernarg_segment_align: 8
    .kernarg_segment_size: 12
    .language:       OpenCL C
    .language_version:
      - 2
      - 0
    .max_flat_workgroup_size: 1024
    .name:           _ZN4RAJA6detail3hip16get_value_globalINS0_10DispatcherILN4camp9resources2v18PlatformE8ENS_6policy9workgroup34indirect_virtual_function_dispatchENS8_3hip8hip_workILm1024ELb1EEEJEE21DeviceImplTypeFactoryINS0_29HoldHipDeviceXThreadblockLoopINS_17TypedRangeSegmentIllEEN8rajaperf4comm9HALO_base6PackerElJEEEEEEEvPNT_10value_typeESP_
    .private_segment_fixed_size: 0
    .sgpr_count:     4
    .sgpr_spill_count: 0
    .symbol:         _ZN4RAJA6detail3hip16get_value_globalINS0_10DispatcherILN4camp9resources2v18PlatformE8ENS_6policy9workgroup34indirect_virtual_function_dispatchENS8_3hip8hip_workILm1024ELb1EEEJEE21DeviceImplTypeFactoryINS0_29HoldHipDeviceXThreadblockLoopINS_17TypedRangeSegmentIllEEN8rajaperf4comm9HALO_base6PackerElJEEEEEEEvPNT_10value_typeESP_.kd
    .uniform_work_group_size: 1
    .uses_dynamic_stack: false
    .vgpr_count:     3
    .vgpr_spill_count: 0
    .wavefront_size: 32
  - .args:
      - .offset:         0
        .size:           16
        .value_kind:     by_value
      - .offset:         16
        .size:           4
        .value_kind:     hidden_block_count_x
      - .offset:         20
        .size:           4
        .value_kind:     hidden_block_count_y
      - .offset:         24
        .size:           4
        .value_kind:     hidden_block_count_z
      - .offset:         28
        .size:           2
        .value_kind:     hidden_group_size_x
      - .offset:         30
        .size:           2
        .value_kind:     hidden_group_size_y
      - .offset:         32
        .size:           2
        .value_kind:     hidden_group_size_z
      - .offset:         34
        .size:           2
        .value_kind:     hidden_remainder_x
      - .offset:         36
        .size:           2
        .value_kind:     hidden_remainder_y
      - .offset:         38
        .size:           2
        .value_kind:     hidden_remainder_z
      - .offset:         56
        .size:           8
        .value_kind:     hidden_global_offset_x
      - .offset:         64
        .size:           8
        .value_kind:     hidden_global_offset_y
      - .offset:         72
        .size:           8
        .value_kind:     hidden_global_offset_z
      - .offset:         80
        .size:           2
        .value_kind:     hidden_grid_dims
      - .offset:         96
        .size:           8
        .value_kind:     hidden_hostcall_buffer
      - .offset:         104
        .size:           8
        .value_kind:     hidden_multigrid_sync_arg
      - .offset:         112
        .size:           8
        .value_kind:     hidden_heap_v1
      - .offset:         120
        .size:           8
        .value_kind:     hidden_default_queue
      - .offset:         128
        .size:           8
        .value_kind:     hidden_completion_action
      - .offset:         216
        .size:           8
        .value_kind:     hidden_queue_ptr
    .group_segment_fixed_size: 0
    .kernarg_segment_align: 8
    .kernarg_segment_size: 272
    .language:       OpenCL C
    .language_version:
      - 2
      - 0
    .max_flat_workgroup_size: 1024
    .name:           _ZN4RAJA6detail28hip_unordered_y_block_globalILm1024ENS0_22random_access_iteratorINS0_11WorkStorageINS_6policy9workgroup32constant_stride_array_of_objectsEN8rajaperf23RAJAPoolAllocatorHolderINS_13basic_mempool7MemPoolINS_3hip15PinnedAllocatorEEEE9AllocatorIcEENS0_10DispatcherILN4camp9resources2v18PlatformE8ENS5_34indirect_virtual_function_dispatchENS4_3hip8hip_workILm1024ELb1EEEJEEEE19const_iterator_baseEEENS0_10WorkStructILm16ESQ_EElJEEEvT0_DpT3_
    .private_segment_fixed_size: 0
    .sgpr_count:     56
    .sgpr_spill_count: 0
    .symbol:         _ZN4RAJA6detail28hip_unordered_y_block_globalILm1024ENS0_22random_access_iteratorINS0_11WorkStorageINS_6policy9workgroup32constant_stride_array_of_objectsEN8rajaperf23RAJAPoolAllocatorHolderINS_13basic_mempool7MemPoolINS_3hip15PinnedAllocatorEEEE9AllocatorIcEENS0_10DispatcherILN4camp9resources2v18PlatformE8ENS5_34indirect_virtual_function_dispatchENS4_3hip8hip_workILm1024ELb1EEEJEEEE19const_iterator_baseEEENS0_10WorkStructILm16ESQ_EElJEEEvT0_DpT3_.kd
    .uniform_work_group_size: 1
    .uses_dynamic_stack: true
    .vgpr_count:     32
    .vgpr_spill_count: 0
    .wavefront_size: 32
  - .args:
      - .address_space:  global
        .offset:         0
        .size:           8
        .value_kind:     global_buffer
      - .offset:         8
        .size:           1
        .value_kind:     by_value
    .group_segment_fixed_size: 0
    .kernarg_segment_align: 8
    .kernarg_segment_size: 12
    .language:       OpenCL C
    .language_version:
      - 2
      - 0
    .max_flat_workgroup_size: 1024
    .name:           _ZN4RAJA6detail3hip16get_value_globalINS0_10DispatcherILN4camp9resources2v18PlatformE8ENS_6policy9workgroup34indirect_virtual_function_dispatchENS8_3hip8hip_workILm1024ELb1EEEJEE21DeviceImplTypeFactoryINS0_29HoldHipDeviceXThreadblockLoopINS_17TypedRangeSegmentIllEEN8rajaperf4comm9HALO_base8UnPackerElJEEEEEEEvPNT_10value_typeESP_
    .private_segment_fixed_size: 0
    .sgpr_count:     4
    .sgpr_spill_count: 0
    .symbol:         _ZN4RAJA6detail3hip16get_value_globalINS0_10DispatcherILN4camp9resources2v18PlatformE8ENS_6policy9workgroup34indirect_virtual_function_dispatchENS8_3hip8hip_workILm1024ELb1EEEJEE21DeviceImplTypeFactoryINS0_29HoldHipDeviceXThreadblockLoopINS_17TypedRangeSegmentIllEEN8rajaperf4comm9HALO_base8UnPackerElJEEEEEEEvPNT_10value_typeESP_.kd
    .uniform_work_group_size: 1
    .uses_dynamic_stack: false
    .vgpr_count:     3
    .vgpr_spill_count: 0
    .wavefront_size: 32
amdhsa.target:   amdgcn-amd-amdhsa--gfx1250
amdhsa.version:
  - 1
  - 2
...

	.end_amdgpu_metadata
